;; amdgpu-corpus repo=ROCm/bitsandbytes kind=harvested arch=n/a opt=n/a
	.text
	.amdgcn_target "amdgcn-amd-amdhsa--gfx1100"
	.amdhsa_code_object_version 6
	.protected	_Z38kPreconditionOptimizerStatic8bit2StateIfLi0EEvPT_S1_PhS2_PffffiS3_S3_S3_S3_S3_S3_fi ; -- Begin function _Z38kPreconditionOptimizerStatic8bit2StateIfLi0EEvPT_S1_PhS2_PffffiS3_S3_S3_S3_S3_S3_fi
	.globl	_Z38kPreconditionOptimizerStatic8bit2StateIfLi0EEvPT_S1_PhS2_PffffiS3_S3_S3_S3_S3_S3_fi
	.p2align	8
	.type	_Z38kPreconditionOptimizerStatic8bit2StateIfLi0EEvPT_S1_PhS2_PffffiS3_S3_S3_S3_S3_S3_fi,@function
_Z38kPreconditionOptimizerStatic8bit2StateIfLi0EEvPT_S1_PhS2_PffffiS3_S3_S3_S3_S3_S3_fi: ; @_Z38kPreconditionOptimizerStatic8bit2StateIfLi0EEvPT_S1_PhS2_PffffiS3_S3_S3_S3_S3_S3_fi
; %bb.0:
	s_clause 0x1
	s_load_b32 s2, s[0:1], 0x70
	s_load_b32 s3, s[0:1], 0x7c
	s_mov_b32 s4, exec_lo
	v_cmpx_gt_u32_e32 0x100, v0
	s_cbranch_execz .LBB91_2
; %bb.1:
	s_load_b128 s[8:11], s[0:1], 0x38
	v_lshlrev_b32_e32 v1, 2, v0
	s_waitcnt lgkmcnt(0)
	s_clause 0x1
	global_load_b32 v2, v1, s[8:9]
	global_load_b32 v3, v1, s[10:11]
	s_waitcnt vmcnt(0)
	ds_store_2addr_stride64_b32 v1, v2, v3 offset0:66 offset1:70
.LBB91_2:
	s_or_b32 exec_lo, exec_lo, s4
	s_load_b64 s[48:49], s[0:1], 0x68
	s_waitcnt lgkmcnt(0)
	s_and_b32 s3, 0xffff, s3
	v_and_b32_e32 v27, 0xe0, v0
	s_mul_i32 s3, s15, s3
	s_lshl_b32 s33, s2, 12
	s_lshl_b32 s12, s3, 2
	s_mov_b32 s2, -1
	s_cmp_lt_u32 s12, s33
	s_barrier
	buffer_gl0_inv
	s_cbranch_scc1 .LBB91_4
; %bb.3:
	s_lshl_b32 s2, s15, 12
	v_and_b32_e32 v1, 0xe0, v0
	s_sub_i32 s2, s49, s2
	s_mov_b32 s4, 0xff7fffff
	s_min_u32 s50, s2, 0x1000
	s_mov_b32 s3, 0
	s_mov_b32 s2, 0
	s_branch .LBB91_5
.LBB91_4:
                                        ; implicit-def: $sgpr50
                                        ; implicit-def: $sgpr3
                                        ; implicit-def: $sgpr4
                                        ; implicit-def: $vgpr1
.LBB91_5:
	s_clause 0x1
	s_load_b64 s[34:35], s[0:1], 0x20
	s_load_b256 s[36:43], s[0:1], 0x48
	v_dual_mov_b32 v29, s4 :: v_dual_mov_b32 v28, s3
	v_mbcnt_lo_u32_b32 v26, -1, 0
	v_mov_b32_e32 v57, s4
	s_and_not1_b32 vcc_lo, exec_lo, s2
	s_cbranch_vccnz .LBB91_107
; %bb.6:
	s_load_b128 s[44:47], s[0:1], 0x28
	v_or_b32_e32 v15, v26, v27
	s_clause 0x1
	s_load_b128 s[8:11], s[0:1], 0x8
	s_load_b64 s[6:7], s[0:1], 0x18
	s_mov_b32 s0, 0x3e76c4e1
	s_waitcnt lgkmcnt(0)
	s_cmp_lg_u64 s[34:35], 0
	v_dual_mov_b32 v18, s12 :: v_dual_mov_b32 v29, 0xff7fffff
	s_mov_b32 s16, 0
	v_lshlrev_b32_e32 v12, 2, v26
	v_lshlrev_b32_e32 v11, 4, v0
	v_dual_mov_b32 v19, 0 :: v_dual_mov_b32 v28, 0
	v_cvt_f32_i32_e32 v1, s47
	v_cmp_neq_f32_e64 vcc_lo, s44, 1.0
	v_add_co_u32 v12, s1, s8, v12
	s_cselect_b32 s47, -1, 0
	s_sub_i32 s49, s49, s12
	v_cndmask_b32_e32 v2, 1.0, v1, vcc_lo
	v_cmp_neq_f32_e64 vcc_lo, s45, 1.0
	s_delay_alu instid0(VALU_DEP_2) | instskip(SKIP_1) | instid1(VALU_DEP_2)
	v_cmp_eq_f32_e64 s2, 0, v2
	v_cndmask_b32_e32 v7, 1.0, v1, vcc_lo
	v_cndmask_b32_e64 v8, |s44|, 1.0, s2
	v_cndmask_b32_e64 v89, s44, 1.0, s2
	s_delay_alu instid0(VALU_DEP_2) | instskip(NEXT) | instid1(VALU_DEP_1)
	v_frexp_mant_f32_e32 v1, v8
	v_cmp_gt_f32_e64 s4, 0x3f2aaaab, v1
	s_delay_alu instid0(VALU_DEP_1) | instskip(NEXT) | instid1(VALU_DEP_1)
	v_cndmask_b32_e64 v4, 1.0, 2.0, s4
	v_mul_f32_e32 v4, v1, v4
	v_cmp_eq_f32_e32 vcc_lo, 0, v7
	v_mov_b32_e32 v1, 0
	v_trunc_f32_e32 v68, v7
	s_delay_alu instid0(VALU_DEP_4) | instskip(SKIP_2) | instid1(VALU_DEP_4)
	v_dual_mul_f32 v79, 0.5, v7 :: v_dual_add_f32 v14, -1.0, v4
	v_cndmask_b32_e64 v9, |s45|, 1.0, vcc_lo
	v_cndmask_b32_e64 v90, s45, 1.0, vcc_lo
	v_cmp_eq_f32_e32 vcc_lo, v68, v7
	s_delay_alu instid0(VALU_DEP_4) | instskip(NEXT) | instid1(VALU_DEP_4)
	v_trunc_f32_e32 v84, v79
	v_frexp_mant_f32_e32 v3, v9
	s_delay_alu instid0(VALU_DEP_1) | instskip(NEXT) | instid1(VALU_DEP_1)
	v_cmp_gt_f32_e64 s3, 0x3f2aaaab, v3
	v_cndmask_b32_e64 v5, 1.0, 2.0, s3
	s_delay_alu instid0(VALU_DEP_1) | instskip(NEXT) | instid1(VALU_DEP_1)
	v_mul_f32_e32 v3, v3, v5
	v_dual_add_f32 v5, 1.0, v4 :: v_dual_add_f32 v6, 1.0, v3
	s_delay_alu instid0(VALU_DEP_1) | instskip(SKIP_2) | instid1(VALU_DEP_3)
	v_rcp_f32_e32 v10, v5
	v_add_f32_e32 v16, -1.0, v3
	v_add_f32_e32 v20, -1.0, v5
	v_rcp_f32_e32 v13, v6
	s_delay_alu instid0(VALU_DEP_1) | instskip(NEXT) | instid1(VALU_DEP_1)
	v_dual_add_f32 v23, -1.0, v6 :: v_dual_sub_f32 v4, v4, v20
	v_sub_f32_e32 v3, v3, v23
	s_waitcnt_depctr 0xfff
	v_mul_f32_e32 v17, v14, v10
	v_mul_f32_e32 v21, v16, v13
	s_delay_alu instid0(VALU_DEP_2) | instskip(NEXT) | instid1(VALU_DEP_1)
	v_dual_mul_f32 v22, v5, v17 :: v_dual_lshlrev_b32 v23, 4, v15
	v_fma_f32 v5, v17, v5, -v22
	s_delay_alu instid0(VALU_DEP_1) | instskip(NEXT) | instid1(VALU_DEP_1)
	v_dual_mul_f32 v20, v6, v21 :: v_dual_fmac_f32 v5, v17, v4
	v_fma_f32 v6, v21, v6, -v20
	v_bfe_u32 v4, v15, 1, 27
	s_delay_alu instid0(VALU_DEP_2) | instskip(SKIP_1) | instid1(VALU_DEP_2)
	v_dual_add_f32 v15, v22, v5 :: v_dual_fmac_f32 v6, v21, v3
	v_and_b32_e32 v11, 0xe00, v11
	v_dual_sub_f32 v37, v14, v15 :: v_dual_and_b32 v48, 0x7c, v4
	s_delay_alu instid0(VALU_DEP_3) | instskip(SKIP_1) | instid1(VALU_DEP_4)
	v_add_f32_e32 v34, v20, v6
	v_sub_f32_e32 v22, v15, v22
	v_lshlrev_b32_e32 v24, 2, v11
	v_add_lshl_u32 v31, v4, v23, 2
	v_sub_f32_e32 v14, v14, v37
	v_cvt_f64_f32_e32 v[3:4], v8
	v_sub_f32_e32 v5, v22, v5
	v_or_b32_e32 v30, v26, v11
	v_lshrrev_b32_e32 v25, 5, v11
	v_sub_f32_e32 v14, v14, v15
	v_sub_f32_e32 v20, v34, v20
	s_delay_alu instid0(VALU_DEP_4) | instskip(NEXT) | instid1(VALU_DEP_4)
	v_or_b32_e32 v35, 0x80, v30
	v_add_nc_u32_e32 v47, v25, v30
	s_delay_alu instid0(VALU_DEP_4) | instskip(SKIP_4) | instid1(VALU_DEP_4)
	v_add_f32_e32 v5, v5, v14
	v_sub_f32_e32 v40, v16, v34
	v_sub_f32_e32 v6, v20, v6
	v_lshrrev_b32_e32 v58, 5, v35
	v_lshlrev_b32_e32 v49, 2, v47
	v_dual_add_f32 v5, v37, v5 :: v_dual_sub_f32 v16, v16, v40
	v_or_b32_e32 v39, 0x100, v30
	v_or_b32_e32 v43, 0x180, v30
	;; [unrolled: 1-line block ×3, first 2 shown]
	s_delay_alu instid0(VALU_DEP_4) | instskip(NEXT) | instid1(VALU_DEP_4)
	v_dual_mul_f32 v10, v10, v5 :: v_dual_sub_f32 v15, v16, v34
	v_lshrrev_b32_e32 v62, 5, v39
	s_delay_alu instid0(VALU_DEP_4) | instskip(SKIP_1) | instid1(VALU_DEP_4)
	v_lshrrev_b32_e32 v66, 5, v43
	v_or_b32_e32 v34, 0x60, v30
	v_add_f32_e32 v14, v17, v10
	v_add_f32_e32 v6, v6, v15
	v_or_b32_e32 v36, 0xa0, v30
	v_or_b32_e32 v42, 0x160, v30
	v_lshrrev_b32_e32 v57, 5, v34
	v_sub_f32_e32 v16, v14, v17
	v_add_f32_e32 v6, v40, v6
	v_lshrrev_b32_e32 v72, 5, v36
	v_or_b32_e32 v33, 64, v30
	v_or_b32_e32 v40, 0x120, v30
	s_delay_alu instid0(VALU_DEP_4)
	v_dual_sub_f32 v10, v10, v16 :: v_dual_mul_f32 v13, v13, v6
	v_cvt_f64_f32_e32 v[5:6], v9
	v_lshrrev_b32_e32 v77, 5, v42
	v_frexp_exp_i32_f64_e32 v3, v[3:4]
	v_lshrrev_b32_e32 v25, 5, v33
	v_add_f32_e32 v15, v21, v13
	v_mul_f32_e32 v17, v14, v14
	v_lshrrev_b32_e32 v75, 5, v40
	v_add_lshl_u32 v65, v77, v42, 2
	v_or_b32_e32 v37, 0xc0, v30
	v_sub_f32_e32 v20, v15, v21
	v_mul_f32_e32 v16, v15, v15
	v_fma_f32 v21, v14, v14, -v17
	v_or_b32_e32 v41, 0x140, v30
	v_lshrrev_b32_e32 v73, 5, v37
	v_dual_sub_f32 v13, v13, v20 :: v_dual_add_f32 v20, v10, v10
	v_fma_f32 v4, v15, v15, -v16
	s_delay_alu instid0(VALU_DEP_4) | instskip(SKIP_1) | instid1(VALU_DEP_4)
	v_lshrrev_b32_e32 v76, 5, v41
	v_or_b32_e32 v38, 0xe0, v30
	v_dual_add_f32 v22, v13, v13 :: v_dual_fmac_f32 v21, v14, v20
	v_add_co_ci_u32_e64 v20, null, s9, 0, s1
	v_or_b32_e32 v44, 0x1a0, v30
	s_delay_alu instid0(VALU_DEP_3) | instskip(NEXT) | instid1(VALU_DEP_4)
	v_fmac_f32_e32 v4, v15, v22
	v_add_f32_e32 v22, v17, v21
	v_or_b32_e32 v45, 0x1c0, v30
	v_or_b32_e32 v46, 0x1e0, v30
	v_lshrrev_b32_e32 v74, 5, v38
	v_add_lshl_u32 v64, v76, v41, 2
	v_fmaak_f32 v51, s0, v22, 0x3e91f4c4
	v_sub_f32_e32 v17, v22, v17
	s_delay_alu instid0(VALU_DEP_2) | instskip(SKIP_1) | instid1(VALU_DEP_2)
	v_fmaak_f32 v51, v22, v51, 0x3ecccdef
	v_frexp_exp_i32_f64_e32 v5, v[5:6]
	v_dual_mul_f32 v53, v22, v51 :: v_dual_add_f32 v50, v16, v4
	s_delay_alu instid0(VALU_DEP_1) | instskip(SKIP_3) | instid1(VALU_DEP_4)
	v_fmaak_f32 v52, s0, v50, 0x3e91f4c4
	v_sub_f32_e32 v6, v50, v16
	v_sub_f32_e32 v16, v21, v17
	v_subrev_co_ci_u32_e64 v3, s0, 0, v3, s4
	v_fmaak_f32 v52, v50, v52, 0x3ecccdef
	v_add_nc_u32_e32 v48, v48, v23
	v_sub_f32_e32 v4, v4, v6
	s_delay_alu instid0(VALU_DEP_4) | instskip(SKIP_3) | instid1(VALU_DEP_2)
	v_cvt_f32_i32_e32 v3, v3
	v_cmp_eq_f32_e64 s4, 0x7f800000, v9
	v_mul_f32_e32 v17, v50, v52
	v_lshrrev_b32_e32 v23, 5, v32
	v_fma_f32 v6, v50, v52, -v17
	s_delay_alu instid0(VALU_DEP_1) | instskip(NEXT) | instid1(VALU_DEP_1)
	v_fmac_f32_e32 v6, v4, v52
	v_add_f32_e32 v55, v17, v6
	s_delay_alu instid0(VALU_DEP_1) | instskip(SKIP_4) | instid1(VALU_DEP_4)
	v_add_f32_e32 v61, 0x3f2aaaaa, v55
	v_fma_f32 v21, v22, v51, -v53
	v_sub_f32_e32 v17, v55, v17
	v_subrev_co_ci_u32_e64 v5, s0, 0, v5, s3
	v_add_co_u32 v70, s0, s10, v26
	v_fmac_f32_e32 v21, v16, v51
	v_mul_f32_e32 v51, v14, v22
	s_delay_alu instid0(VALU_DEP_4) | instskip(SKIP_1) | instid1(VALU_DEP_4)
	v_cvt_f32_i32_e32 v5, v5
	v_add_co_ci_u32_e64 v71, null, s11, 0, s0
	v_add_f32_e32 v52, v53, v21
	s_delay_alu instid0(VALU_DEP_4) | instskip(SKIP_1) | instid1(VALU_DEP_3)
	v_fma_f32 v56, v22, v14, -v51
	v_cmp_eq_f32_e64 s3, 0x7f800000, v8
	v_sub_f32_e32 v53, v52, v53
	v_add_f32_e32 v59, 0x3f2aaaaa, v52
	s_delay_alu instid0(VALU_DEP_2) | instskip(NEXT) | instid1(VALU_DEP_2)
	v_sub_f32_e32 v21, v21, v53
	v_add_f32_e32 v53, 0xbf2aaaaa, v59
	s_delay_alu instid0(VALU_DEP_2) | instskip(SKIP_3) | instid1(VALU_DEP_2)
	v_add_f32_e32 v21, 0x31739010, v21
	v_sub_f32_e32 v6, v6, v17
	v_dual_add_f32 v17, 0xbf2aaaaa, v61 :: v_dual_fmac_f32 v56, v22, v10
	v_ldexp_f32 v10, v10, 1
	v_dual_add_f32 v6, 0x31739010, v6 :: v_dual_sub_f32 v17, v55, v17
	s_delay_alu instid0(VALU_DEP_3) | instskip(NEXT) | instid1(VALU_DEP_2)
	v_fmac_f32_e32 v56, v16, v14
	v_add_f32_e32 v6, v6, v17
	v_sub_f32_e32 v22, v52, v53
	s_delay_alu instid0(VALU_DEP_1) | instskip(NEXT) | instid1(VALU_DEP_3)
	v_add_f32_e32 v16, v21, v22
	v_add_f32_e32 v21, v61, v6
	v_mul_f32_e32 v54, v15, v50
	s_delay_alu instid0(VALU_DEP_3) | instskip(NEXT) | instid1(VALU_DEP_3)
	v_add_f32_e32 v17, v59, v16
	v_sub_f32_e32 v53, v61, v21
	s_delay_alu instid0(VALU_DEP_3) | instskip(NEXT) | instid1(VALU_DEP_2)
	v_fma_f32 v60, v50, v15, -v54
	v_add_f32_e32 v6, v6, v53
	s_delay_alu instid0(VALU_DEP_2) | instskip(SKIP_1) | instid1(VALU_DEP_2)
	v_fmac_f32_e32 v60, v50, v13
	v_ldexp_f32 v13, v13, 1
	v_fmac_f32_e32 v60, v4, v15
	s_delay_alu instid0(VALU_DEP_1) | instskip(NEXT) | instid1(VALU_DEP_1)
	v_add_f32_e32 v22, v54, v60
	v_dual_mul_f32 v55, v22, v21 :: v_dual_add_f32 v4, v51, v56
	v_sub_f32_e32 v54, v22, v54
	s_delay_alu instid0(VALU_DEP_2) | instskip(NEXT) | instid1(VALU_DEP_3)
	v_fma_f32 v53, v22, v21, -v55
	v_dual_sub_f32 v50, v4, v51 :: v_dual_sub_f32 v51, v59, v17
	v_mul_f32_e32 v52, v4, v17
	v_add_lshl_u32 v59, v72, v36, 2
	s_delay_alu instid0(VALU_DEP_4) | instskip(SKIP_3) | instid1(VALU_DEP_3)
	v_fmac_f32_e32 v53, v22, v6
	v_lshrrev_b32_e32 v6, 5, v44
	v_add_f32_e32 v16, v16, v51
	v_fma_f32 v51, v4, v17, -v52
	v_add_lshl_u32 v67, v6, v44, 2
	s_delay_alu instid0(VALU_DEP_2) | instskip(SKIP_2) | instid1(VALU_DEP_3)
	v_dual_fmac_f32 v51, v4, v16 :: v_dual_and_b32 v6, 0x7c, v6
	v_mul_f32_e32 v16, 0x3f317218, v3
	v_sub_f32_e32 v50, v56, v50
	v_add_nc_u32_e32 v86, v6, v44
	s_delay_alu instid0(VALU_DEP_2) | instskip(SKIP_2) | instid1(VALU_DEP_2)
	v_fmac_f32_e32 v51, v50, v17
	v_dual_mul_f32 v17, 0x3f317218, v5 :: v_dual_sub_f32 v4, v60, v54
	v_add_lshl_u32 v60, v73, v37, 2
	v_fma_f32 v50, 0x3f317218, v5, -v17
	s_delay_alu instid0(VALU_DEP_3) | instskip(SKIP_4) | instid1(VALU_DEP_2)
	v_fmac_f32_e32 v53, v4, v21
	v_ldexp_f32 v4, v14, 1
	v_ldexp_f32 v14, v15, 1
	v_fma_f32 v21, 0x3f317218, v3, -v16
	v_fmac_f32_e32 v50, 0xb102e308, v5
	v_dual_add_f32 v22, v55, v53 :: v_dual_fmac_f32 v21, 0xb102e308, v3
	s_delay_alu instid0(VALU_DEP_1) | instskip(SKIP_1) | instid1(VALU_DEP_1)
	v_sub_f32_e32 v55, v22, v55
	v_dual_add_f32 v15, v52, v51 :: v_dual_add_f32 v56, v14, v22
	v_add_f32_e32 v54, v4, v15
	v_sub_f32_e32 v52, v15, v52
	s_delay_alu instid0(VALU_DEP_3) | instskip(NEXT) | instid1(VALU_DEP_3)
	v_sub_f32_e32 v14, v56, v14
	v_sub_f32_e32 v4, v54, v4
	s_delay_alu instid0(VALU_DEP_3) | instskip(NEXT) | instid1(VALU_DEP_1)
	v_sub_f32_e32 v51, v51, v52
	v_dual_sub_f32 v3, v15, v4 :: v_dual_add_f32 v4, v10, v51
	s_delay_alu instid0(VALU_DEP_4) | instskip(SKIP_1) | instid1(VALU_DEP_3)
	v_sub_f32_e32 v10, v22, v14
	v_lshrrev_b32_e32 v14, 5, v45
	v_add_f32_e32 v3, v4, v3
	v_sub_f32_e32 v52, v53, v55
	s_delay_alu instid0(VALU_DEP_1) | instskip(NEXT) | instid1(VALU_DEP_1)
	v_add_f32_e32 v13, v13, v52
	v_add_f32_e32 v4, v13, v10
	;; [unrolled: 1-line block ×4, first 2 shown]
	v_lshrrev_b32_e32 v10, 5, v46
	s_delay_alu instid0(VALU_DEP_3) | instskip(NEXT) | instid1(VALU_DEP_3)
	v_sub_f32_e32 v17, v13, v17
	v_sub_f32_e32 v15, v5, v16
	s_delay_alu instid0(VALU_DEP_1) | instskip(NEXT) | instid1(VALU_DEP_1)
	v_dual_sub_f32 v15, v21, v15 :: v_dual_add_f32 v22, v56, v4
	v_sub_f32_e32 v53, v22, v56
	v_add_f32_e32 v16, v54, v3
	v_add_f32_e32 v52, v13, v22
	v_add_lshl_u32 v56, v57, v34, 2
	s_delay_alu instid0(VALU_DEP_3) | instskip(SKIP_1) | instid1(VALU_DEP_4)
	v_add_f32_e32 v51, v5, v16
	v_sub_f32_e32 v21, v16, v54
	v_sub_f32_e32 v55, v52, v13
	s_delay_alu instid0(VALU_DEP_3) | instskip(NEXT) | instid1(VALU_DEP_3)
	v_sub_f32_e32 v54, v51, v5
	v_sub_f32_e32 v3, v3, v21
	s_delay_alu instid0(VALU_DEP_2) | instskip(SKIP_1) | instid1(VALU_DEP_2)
	v_sub_f32_e32 v21, v51, v54
	v_sub_f32_e32 v17, v50, v17
	v_dual_sub_f32 v5, v5, v21 :: v_dual_sub_f32 v16, v16, v54
	v_add_co_u32 v21, s0, s6, v26
	s_delay_alu instid0(VALU_DEP_1) | instskip(NEXT) | instid1(VALU_DEP_3)
	v_add_co_ci_u32_e64 v78, null, s7, 0, s0
	v_add_f32_e32 v5, v16, v5
	v_dual_sub_f32 v4, v4, v53 :: v_dual_add_f32 v53, v15, v3
	v_sub_f32_e32 v50, v52, v55
	v_cmp_eq_f32_e64 s6, 0, v89
	v_cmp_neq_f32_e64 s7, v84, v79
	s_delay_alu instid0(VALU_DEP_4) | instskip(SKIP_3) | instid1(VALU_DEP_4)
	v_add_f32_e32 v5, v53, v5
	v_sub_f32_e32 v16, v53, v15
	v_dual_sub_f32 v13, v13, v50 :: v_dual_sub_f32 v22, v22, v55
	v_add_lshl_u32 v55, v25, v33, 2
	v_add_f32_e32 v61, v51, v5
	s_delay_alu instid0(VALU_DEP_4) | instskip(SKIP_3) | instid1(VALU_DEP_3)
	v_sub_f32_e32 v53, v53, v16
	v_sub_f32_e64 v50, 1.0, s44
	v_add_f32_e32 v13, v22, v13
	s_and_b32 s7, vcc_lo, s7
	v_sub_f32_e32 v15, v15, v53
	v_sub_f32_e32 v3, v3, v16
	v_add_f32_e32 v54, v17, v4
	v_cndmask_b32_e64 v9, 0, v90, s7
	s_delay_alu instid0(VALU_DEP_3) | instskip(NEXT) | instid1(VALU_DEP_3)
	v_add_f32_e32 v3, v3, v15
	v_add_f32_e32 v13, v54, v13
	s_delay_alu instid0(VALU_DEP_1) | instskip(SKIP_1) | instid1(VALU_DEP_1)
	v_add_f32_e32 v63, v52, v13
	v_sub_f32_e32 v22, v54, v17
	v_sub_f32_e32 v16, v54, v22
	v_add_lshl_u32 v54, v23, v32, 2
	s_delay_alu instid0(VALU_DEP_2) | instskip(SKIP_2) | instid1(VALU_DEP_2)
	v_sub_f32_e32 v16, v17, v16
	v_dual_sub_f32 v17, v61, v51 :: v_dual_sub_f32 v4, v4, v22
	v_sub_f32_e64 v51, 1.0, s45
	v_sub_f32_e32 v5, v5, v17
	s_delay_alu instid0(VALU_DEP_1) | instskip(SKIP_2) | instid1(VALU_DEP_1)
	v_add_f32_e32 v3, v3, v5
	v_sub_f32_e32 v22, v63, v52
	v_add_co_u32 v52, s0, v12, v24
	v_add_co_ci_u32_e64 v53, s0, 0, v20, s0
	s_delay_alu instid0(VALU_DEP_4) | instskip(NEXT) | instid1(VALU_DEP_4)
	v_dual_add_f32 v5, v61, v3 :: v_dual_add_f32 v4, v4, v16
	v_dual_sub_f32 v13, v13, v22 :: v_dual_add_nc_u32 v58, v58, v35
	s_delay_alu instid0(VALU_DEP_2) | instskip(NEXT) | instid1(VALU_DEP_2)
	v_mul_f32_e32 v15, v2, v5
	v_add_f32_e32 v4, v4, v13
	v_sub_f32_e32 v13, v5, v61
	v_add_lshl_u32 v61, v74, v38, 2
	s_delay_alu instid0(VALU_DEP_4) | instskip(SKIP_2) | instid1(VALU_DEP_1)
	v_fma_f32 v5, v2, v5, -v15
	v_cmp_class_f32_e64 s0, v15, 0x204
	v_add_f32_e32 v12, v63, v4
	v_dual_sub_f32 v3, v3, v13 :: v_dual_sub_f32 v16, v12, v63
	v_mul_f32_e32 v17, v7, v12
	s_delay_alu instid0(VALU_DEP_2)
	v_fmac_f32_e32 v5, v2, v3
	v_add_nc_u32_e32 v62, v62, v39
	v_add_lshl_u32 v63, v75, v40, 2
	v_sub_f32_e32 v4, v4, v16
	v_fma_f32 v12, v7, v12, -v17
	v_add_f32_e32 v3, v15, v5
	s_delay_alu instid0(VALU_DEP_2) | instskip(SKIP_1) | instid1(VALU_DEP_3)
	v_fmac_f32_e32 v12, v7, v4
	v_add_nc_u32_e32 v66, v66, v43
	v_cndmask_b32_e64 v16, v3, v15, s0
	v_cmp_class_f32_e64 s0, v17, 0x204
	v_trunc_f32_e32 v4, v2
	v_add_f32_e32 v13, v17, v12
	v_sub_f32_e32 v3, v3, v15
	v_cmp_eq_f32_e64 s1, 0x42b17218, v16
	v_cmp_neq_f32_e64 s8, 0x7f800000, |v16|
	v_cmp_eq_f32_e64 s2, v4, v2
	v_cndmask_b32_e64 v22, v13, v17, s0
	v_cmp_gt_f32_e64 s0, 0, v2
	v_cndmask_b32_e64 v24, 0, 0x37000000, s1
	v_sub_f32_e32 v3, v5, v3
	s_delay_alu instid0(VALU_DEP_4) | instskip(NEXT) | instid1(VALU_DEP_4)
	v_cmp_eq_f32_e64 s1, 0x42b17218, v22
	s_xor_b32 s0, s0, s6
	s_delay_alu instid0(VALU_DEP_2) | instskip(SKIP_1) | instid1(VALU_DEP_3)
	v_cndmask_b32_e64 v3, 0, v3, s8
	v_cmp_neq_f32_e64 s8, 0x7f800000, |v22|
	v_cndmask_b32_e64 v69, 0, 0x37000000, s1
	v_mul_f32_e32 v20, 0.5, v2
	v_cmp_gt_f32_e64 s1, 0, v7
	v_add_f32_e32 v3, v24, v3
	s_delay_alu instid0(VALU_DEP_4) | instskip(NEXT) | instid1(VALU_DEP_4)
	v_sub_f32_e32 v81, v22, v69
	v_trunc_f32_e32 v4, v20
	s_delay_alu instid0(VALU_DEP_2) | instskip(NEXT) | instid1(VALU_DEP_2)
	v_mul_f32_e32 v8, 0x3fb8aa3b, v81
	v_cmp_neq_f32_e64 s5, v4, v20
	s_delay_alu instid0(VALU_DEP_2) | instskip(SKIP_2) | instid1(VALU_DEP_4)
	v_fma_f32 v7, 0x3fb8aa3b, v81, -v8
	v_sub_f32_e32 v80, v16, v24
	v_rndne_f32_e32 v68, v8
	s_and_b32 s5, s2, s5
	s_delay_alu instid0(VALU_DEP_3) | instskip(NEXT) | instid1(VALU_DEP_3)
	v_fmac_f32_e32 v7, 0x32a5705f, v81
	v_mul_f32_e32 v2, 0x3fb8aa3b, v80
	s_delay_alu instid0(VALU_DEP_3) | instskip(NEXT) | instid1(VALU_DEP_2)
	v_sub_f32_e32 v8, v8, v68
	v_fma_f32 v82, 0x3fb8aa3b, v80, -v2
	v_rndne_f32_e32 v83, v2
	s_delay_alu instid0(VALU_DEP_3) | instskip(SKIP_1) | instid1(VALU_DEP_4)
	v_dual_add_f32 v4, v8, v7 :: v_dual_sub_f32 v7, v13, v17
	v_cvt_i32_f32_e32 v8, v68
	v_fmac_f32_e32 v82, 0x32a5705f, v80
	s_delay_alu instid0(VALU_DEP_4) | instskip(NEXT) | instid1(VALU_DEP_4)
	v_sub_f32_e32 v2, v2, v83
	v_exp_f32_e32 v4, v4
	v_sub_f32_e32 v7, v12, v7
	v_cvt_i32_f32_e32 v5, v83
	v_add_lshl_u32 v68, v14, v45, 2
	v_add_f32_e32 v2, v2, v82
	v_and_b32_e32 v17, 0x74, v74
	v_and_b32_e32 v14, 0x7c, v14
	v_lshlrev_b32_e32 v74, 2, v58
	s_delay_alu instid0(VALU_DEP_4) | instskip(NEXT) | instid1(TRANS32_DEP_2)
	v_exp_f32_e32 v2, v2
	v_ldexp_f32 v4, v4, v8
	v_cndmask_b32_e64 v8, 1.0, v90, s7
	v_add_nc_u32_e32 v82, v17, v38
	v_add_nc_u32_e32 v87, v14, v45
	s_waitcnt_depctr 0xfff
	v_ldexp_f32 v2, v2, v5
	v_cndmask_b32_e64 v5, 0, v7, s8
	v_cmp_ngt_f32_e64 s8, 0xc2ce8ed0, v80
	v_cndmask_b32_e64 v7, 1.0, v89, s5
	s_delay_alu instid0(VALU_DEP_3) | instskip(NEXT) | instid1(VALU_DEP_3)
	v_add_f32_e32 v5, v69, v5
	v_cndmask_b32_e64 v2, 0, v2, s8
	v_cmp_ngt_f32_e64 s8, 0xc2ce8ed0, v81
	v_add_lshl_u32 v69, v10, v46, 2
	v_and_b32_e32 v10, 0x7c, v10
	s_delay_alu instid0(VALU_DEP_3) | instskip(SKIP_1) | instid1(VALU_DEP_3)
	v_cndmask_b32_e64 v4, 0, v4, s8
	v_cmp_nlt_f32_e64 s8, 0x42b17218, v80
	v_add_nc_u32_e32 v88, v10, v46
	s_delay_alu instid0(VALU_DEP_2) | instskip(SKIP_1) | instid1(VALU_DEP_2)
	v_cndmask_b32_e64 v2, 0x7f800000, v2, s8
	v_cmp_nlt_f32_e64 s8, 0x42b17218, v81
	v_fma_f32 v3, v2, v3, v2
	s_delay_alu instid0(VALU_DEP_2) | instskip(SKIP_2) | instid1(VALU_DEP_3)
	v_cndmask_b32_e64 v4, 0x7f800000, v4, s8
	v_cmp_class_f32_e64 s9, v2, 0x204
	v_cmp_eq_f32_e64 s8, 0, v90
	v_fma_f32 v5, v4, v5, v4
	s_delay_alu instid0(VALU_DEP_3) | instskip(SKIP_1) | instid1(VALU_DEP_2)
	v_cndmask_b32_e64 v2, v3, v2, s9
	v_cmp_class_f32_e64 s9, v4, 0x204
	v_bfi_b32 v2, 0x7fffffff, v2, v7
	s_delay_alu instid0(VALU_DEP_2) | instskip(SKIP_3) | instid1(VALU_DEP_3)
	v_cndmask_b32_e64 v3, v5, v4, s9
	v_cndmask_b32_e64 v4, 0x7f800000, 0, s0
	;; [unrolled: 1-line block ×3, first 2 shown]
	s_xor_b32 s0, s1, s8
	v_bfi_b32 v3, 0x7fffffff, v3, v8
	v_cndmask_b32_e64 v8, 0x7fc00000, v2, s2
	s_delay_alu instid0(VALU_DEP_3) | instskip(SKIP_1) | instid1(VALU_DEP_4)
	v_bfi_b32 v4, 0x7fffffff, v4, v5
	v_cndmask_b32_e64 v7, 0x7f800000, 0, s0
	v_cndmask_b32_e32 v5, 0x7fc00000, v3, vcc_lo
	v_cmp_gt_f32_e32 vcc_lo, 0, v89
	s_delay_alu instid0(VALU_DEP_3) | instskip(SKIP_2) | instid1(VALU_DEP_2)
	v_bfi_b32 v7, 0x7fffffff, v7, v9
	v_dual_cndmask_b32 v2, v2, v8 :: v_dual_and_b32 v9, 0x70, v57
	v_cmp_gt_f32_e32 vcc_lo, 0, v90
	v_add_nc_u32_e32 v79, v9, v34
	v_cndmask_b32_e32 v3, v3, v5, vcc_lo
	s_or_b32 vcc_lo, s3, s6
	v_cndmask_b32_e32 v2, v2, v4, vcc_lo
	s_or_b32 vcc_lo, s4, s8
	s_delay_alu instid0(VALU_DEP_2) | instskip(SKIP_1) | instid1(VALU_DEP_3)
	v_cndmask_b32_e32 v3, v3, v7, vcc_lo
	v_add_co_u32 v70, vcc_lo, v70, v11
	v_sub_f32_e32 v2, 1.0, v2
	v_add_co_ci_u32_e32 v71, vcc_lo, 0, v71, vcc_lo
	s_delay_alu instid0(VALU_DEP_4) | instskip(NEXT) | instid1(VALU_DEP_3)
	v_sub_f32_e32 v3, 1.0, v3
	v_div_scale_f32 v5, null, v2, v2, 1.0
	v_div_scale_f32 v57, vcc_lo, 1.0, v2, 1.0
	s_delay_alu instid0(VALU_DEP_3) | instskip(NEXT) | instid1(VALU_DEP_3)
	v_div_scale_f32 v7, null, v3, v3, 1.0
	v_rcp_f32_e32 v13, v5
	v_div_scale_f32 v85, s0, 1.0, v3, 1.0
	s_delay_alu instid0(VALU_DEP_2)
	v_rcp_f32_e32 v15, v7
	v_and_b32_e32 v8, 0x70, v25
	s_waitcnt_depctr 0xfff
	v_fma_f32 v24, -v5, v13, 1.0
	v_and_b32_e32 v4, 0x70, v23
	v_and_b32_e32 v23, 0x78, v77
	v_fma_f32 v25, -v7, v15, 1.0
	s_delay_alu instid0(VALU_DEP_4) | instskip(SKIP_2) | instid1(VALU_DEP_3)
	v_dual_fmac_f32 v13, v24, v13 :: v_dual_and_b32 v12, 0x74, v72
	v_add_co_u32 v72, s1, v21, v11
	v_add_nc_u32_e32 v77, v4, v32
	v_mul_f32_e32 v11, v57, v13
	v_dual_fmac_f32 v15, v25, v15 :: v_dual_and_b32 v16, 0x74, v73
	v_add_co_ci_u32_e64 v73, s1, 0, v78, s1
	s_delay_alu instid0(VALU_DEP_3) | instskip(NEXT) | instid1(VALU_DEP_3)
	v_fma_f32 v4, -v5, v11, v57
	v_mul_f32_e32 v21, v85, v15
	v_and_b32_e32 v20, 0x78, v75
	v_add_nc_u32_e32 v80, v12, v36
	v_add_nc_u32_e32 v81, v16, v37
	v_fmac_f32_e32 v11, v4, v13
	s_delay_alu instid0(VALU_DEP_4) | instskip(NEXT) | instid1(VALU_DEP_2)
	v_add_nc_u32_e32 v83, v20, v40
	v_fma_f32 v4, -v5, v11, v57
	v_mov_b32_e32 v57, 0xff7fffff
	s_delay_alu instid0(VALU_DEP_2) | instskip(SKIP_1) | instid1(VALU_DEP_1)
	v_div_fmas_f32 v4, v4, v13, v11
	s_mov_b32 vcc_lo, s0
	v_div_fixup_f32 v2, v4, v2, 1.0
	v_add_nc_u32_e32 v78, v8, v33
	v_fma_f32 v8, -v7, v21, v85
	v_and_b32_e32 v22, 0x78, v76
	s_delay_alu instid0(VALU_DEP_2) | instskip(NEXT) | instid1(VALU_DEP_2)
	v_dual_fmac_f32 v21, v8, v15 :: v_dual_lshlrev_b32 v76, 2, v66
	v_add_nc_u32_e32 v84, v22, v41
	s_delay_alu instid0(VALU_DEP_2) | instskip(SKIP_1) | instid1(VALU_DEP_2)
	v_fma_f32 v5, -v7, v21, v85
	v_add_nc_u32_e32 v85, v23, v42
	v_div_fmas_f32 v5, v5, v15, v21
	v_cmp_o_f32_e32 vcc_lo, v89, v89
	s_delay_alu instid0(VALU_DEP_2) | instskip(SKIP_2) | instid1(VALU_DEP_3)
	v_div_fixup_f32 v3, v5, v3, 1.0
	v_cndmask_b32_e32 v89, 0x7fc00000, v2, vcc_lo
	v_cmp_o_f32_e32 vcc_lo, v90, v90
	v_dual_cndmask_b32 v90, 0x7fc00000, v3 :: v_dual_lshlrev_b32 v75, 2, v62
	s_branch .LBB91_8
.LBB91_7:                               ;   in Loop: Header=BB91_8 Depth=1
	v_max3_f32 v13, v57, |v13|, |v22|
	v_max3_f32 v2, v29, |v2|, |v3|
	v_add_co_u32 v18, s0, v18, s33
	s_delay_alu instid0(VALU_DEP_1) | instskip(NEXT) | instid1(VALU_DEP_3)
	s_and_not1_b32 vcc_lo, exec_lo, s0
	v_max3_f32 v3, v13, |v15|, |v23|
	s_delay_alu instid0(VALU_DEP_3) | instskip(SKIP_1) | instid1(VALU_DEP_2)
	v_max3_f32 v2, v2, |v20|, |v21|
	s_sub_i32 s49, s49, s33
	v_max3_f32 v3, v3, |v24|, |v25|
	s_delay_alu instid0(VALU_DEP_2) | instskip(NEXT) | instid1(VALU_DEP_2)
	v_max3_f32 v2, v2, |v16|, |v17|
	v_max3_f32 v3, v3, |v91|, |v92|
	s_delay_alu instid0(VALU_DEP_2) | instskip(NEXT) | instid1(VALU_DEP_2)
	v_max3_f32 v2, v2, |v14|, |v4|
	;; [unrolled: 3-line block ×5, first 2 shown]
	v_max3_f32 v57, v3, |v98|, |v100|
	s_delay_alu instid0(VALU_DEP_2)
	v_max3_f32 v29, v2, |v6|, |v7|
	s_cbranch_vccnz .LBB91_106
.LBB91_8:                               ; =>This Inner Loop Header: Depth=1
	v_lshlrev_b64 v[2:3], 2, v[18:19]
	s_min_u32 s50, s49, 0x1000
	s_mov_b32 s17, s16
	s_mov_b32 s18, s16
	;; [unrolled: 1-line block ×4, first 2 shown]
	v_add_co_u32 v20, vcc_lo, v52, v2
	s_mov_b32 s21, s16
	s_mov_b32 s22, s16
	;; [unrolled: 1-line block ×11, first 2 shown]
	v_add_co_ci_u32_e32 v21, vcc_lo, v53, v3, vcc_lo
	v_dual_mov_b32 v2, s16 :: v_dual_mov_b32 v3, s17
	v_cmp_gt_u32_e64 s14, s50, v30
	v_dual_mov_b32 v4, s18 :: v_dual_mov_b32 v5, s19
	v_dual_mov_b32 v6, s20 :: v_dual_mov_b32 v7, s21
	;; [unrolled: 1-line block ×7, first 2 shown]
	v_mov_b32_e32 v22, 0
	s_and_saveexec_b32 s0, s14
	s_cbranch_execnz .LBB91_61
; %bb.9:                                ;   in Loop: Header=BB91_8 Depth=1
	s_or_b32 exec_lo, exec_lo, s0
	v_cmp_gt_u32_e64 s13, s50, v32
	s_delay_alu instid0(VALU_DEP_1)
	s_and_saveexec_b32 s0, s13
	s_cbranch_execnz .LBB91_62
.LBB91_10:                              ;   in Loop: Header=BB91_8 Depth=1
	s_or_b32 exec_lo, exec_lo, s0
	v_cmp_gt_u32_e64 s12, s50, v33
	s_delay_alu instid0(VALU_DEP_1)
	s_and_saveexec_b32 s0, s12
	s_cbranch_execnz .LBB91_63
.LBB91_11:                              ;   in Loop: Header=BB91_8 Depth=1
	s_or_b32 exec_lo, exec_lo, s0
	v_cmp_gt_u32_e64 s11, s50, v34
	s_delay_alu instid0(VALU_DEP_1)
	s_and_saveexec_b32 s0, s11
	s_cbranch_execnz .LBB91_64
.LBB91_12:                              ;   in Loop: Header=BB91_8 Depth=1
	s_or_b32 exec_lo, exec_lo, s0
	v_cmp_gt_u32_e64 s10, s50, v35
	s_delay_alu instid0(VALU_DEP_1)
	s_and_saveexec_b32 s0, s10
	s_cbranch_execnz .LBB91_65
.LBB91_13:                              ;   in Loop: Header=BB91_8 Depth=1
	s_or_b32 exec_lo, exec_lo, s0
	v_cmp_gt_u32_e64 s9, s50, v36
	s_delay_alu instid0(VALU_DEP_1)
	s_and_saveexec_b32 s0, s9
	s_cbranch_execnz .LBB91_66
.LBB91_14:                              ;   in Loop: Header=BB91_8 Depth=1
	s_or_b32 exec_lo, exec_lo, s0
	v_cmp_gt_u32_e64 s8, s50, v37
	s_delay_alu instid0(VALU_DEP_1)
	s_and_saveexec_b32 s0, s8
	s_cbranch_execnz .LBB91_67
.LBB91_15:                              ;   in Loop: Header=BB91_8 Depth=1
	s_or_b32 exec_lo, exec_lo, s0
	v_cmp_gt_u32_e64 s7, s50, v38
	s_delay_alu instid0(VALU_DEP_1)
	s_and_saveexec_b32 s0, s7
	s_cbranch_execnz .LBB91_68
.LBB91_16:                              ;   in Loop: Header=BB91_8 Depth=1
	s_or_b32 exec_lo, exec_lo, s0
	v_cmp_gt_u32_e64 s6, s50, v39
	s_delay_alu instid0(VALU_DEP_1)
	s_and_saveexec_b32 s0, s6
	s_cbranch_execnz .LBB91_69
.LBB91_17:                              ;   in Loop: Header=BB91_8 Depth=1
	s_or_b32 exec_lo, exec_lo, s0
	v_cmp_gt_u32_e64 s5, s50, v40
	s_delay_alu instid0(VALU_DEP_1)
	s_and_saveexec_b32 s0, s5
	s_cbranch_execnz .LBB91_70
.LBB91_18:                              ;   in Loop: Header=BB91_8 Depth=1
	s_or_b32 exec_lo, exec_lo, s0
	v_cmp_gt_u32_e64 s4, s50, v41
	s_delay_alu instid0(VALU_DEP_1)
	s_and_saveexec_b32 s0, s4
	s_cbranch_execnz .LBB91_71
.LBB91_19:                              ;   in Loop: Header=BB91_8 Depth=1
	s_or_b32 exec_lo, exec_lo, s0
	v_cmp_gt_u32_e64 s3, s50, v42
	s_delay_alu instid0(VALU_DEP_1)
	s_and_saveexec_b32 s0, s3
	s_cbranch_execnz .LBB91_72
.LBB91_20:                              ;   in Loop: Header=BB91_8 Depth=1
	s_or_b32 exec_lo, exec_lo, s0
	v_cmp_gt_u32_e64 s2, s50, v43
	s_delay_alu instid0(VALU_DEP_1)
	s_and_saveexec_b32 s0, s2
	s_cbranch_execnz .LBB91_73
.LBB91_21:                              ;   in Loop: Header=BB91_8 Depth=1
	s_or_b32 exec_lo, exec_lo, s0
	v_cmp_gt_u32_e64 s1, s50, v44
	s_delay_alu instid0(VALU_DEP_1)
	s_and_saveexec_b32 s0, s1
	s_cbranch_execnz .LBB91_74
.LBB91_22:                              ;   in Loop: Header=BB91_8 Depth=1
	s_or_b32 exec_lo, exec_lo, s0
	v_cmp_gt_u32_e64 s0, s50, v45
	s_delay_alu instid0(VALU_DEP_1)
	s_and_saveexec_b32 s15, s0
	s_cbranch_execnz .LBB91_75
.LBB91_23:                              ;   in Loop: Header=BB91_8 Depth=1
	s_or_b32 exec_lo, exec_lo, s15
	v_cmp_gt_u32_e32 vcc_lo, s50, v46
	s_and_saveexec_b32 s15, vcc_lo
	s_cbranch_execz .LBB91_25
.LBB91_24:                              ;   in Loop: Header=BB91_8 Depth=1
	global_load_b32 v17, v[20:21], off offset:1920
.LBB91_25:                              ;   in Loop: Header=BB91_8 Depth=1
	s_or_b32 exec_lo, exec_lo, s15
	s_waitcnt vmcnt(0)
	ds_store_b32 v49, v22
	ds_store_b32 v54, v3
	;; [unrolled: 1-line block ×16, first 2 shown]
	; wave barrier
	ds_load_2addr_b32 v[22:23], v31 offset1:1
	ds_load_2addr_b32 v[20:21], v31 offset0:2 offset1:3
	ds_load_2addr_b32 v[16:17], v31 offset0:4 offset1:5
	;; [unrolled: 1-line block ×7, first 2 shown]
	v_add_co_u32 v2, s15, v70, v18
	s_delay_alu instid0(VALU_DEP_1)
	v_add_co_ci_u32_e64 v3, s15, 0, v71, s15
	v_dual_mov_b32 v4, 0x80 :: v_dual_mov_b32 v5, 0x80
	v_dual_mov_b32 v24, 0x80 :: v_dual_mov_b32 v25, 0x80
	;; [unrolled: 1-line block ×7, first 2 shown]
	v_mov_b32_e32 v101, 0x80
	s_waitcnt lgkmcnt(0)
	s_barrier
	buffer_gl0_inv
	s_and_saveexec_b32 s15, s14
	s_cbranch_execnz .LBB91_76
; %bb.26:                               ;   in Loop: Header=BB91_8 Depth=1
	s_or_b32 exec_lo, exec_lo, s15
	v_mov_b32_e32 v102, v4
	s_and_saveexec_b32 s15, s13
	s_cbranch_execnz .LBB91_77
.LBB91_27:                              ;   in Loop: Header=BB91_8 Depth=1
	s_or_b32 exec_lo, exec_lo, s15
	s_and_saveexec_b32 s15, s12
	s_cbranch_execnz .LBB91_78
.LBB91_28:                              ;   in Loop: Header=BB91_8 Depth=1
	s_or_b32 exec_lo, exec_lo, s15
	s_and_saveexec_b32 s15, s11
	s_cbranch_execnz .LBB91_79
.LBB91_29:                              ;   in Loop: Header=BB91_8 Depth=1
	s_or_b32 exec_lo, exec_lo, s15
	s_and_saveexec_b32 s15, s10
	s_cbranch_execnz .LBB91_80
.LBB91_30:                              ;   in Loop: Header=BB91_8 Depth=1
	s_or_b32 exec_lo, exec_lo, s15
	s_and_saveexec_b32 s15, s9
	s_cbranch_execnz .LBB91_81
.LBB91_31:                              ;   in Loop: Header=BB91_8 Depth=1
	s_or_b32 exec_lo, exec_lo, s15
	s_and_saveexec_b32 s15, s8
	s_cbranch_execnz .LBB91_82
.LBB91_32:                              ;   in Loop: Header=BB91_8 Depth=1
	s_or_b32 exec_lo, exec_lo, s15
	s_and_saveexec_b32 s15, s7
	s_cbranch_execnz .LBB91_83
.LBB91_33:                              ;   in Loop: Header=BB91_8 Depth=1
	s_or_b32 exec_lo, exec_lo, s15
	s_and_saveexec_b32 s15, s6
	s_cbranch_execnz .LBB91_84
.LBB91_34:                              ;   in Loop: Header=BB91_8 Depth=1
	s_or_b32 exec_lo, exec_lo, s15
	s_and_saveexec_b32 s15, s5
	s_cbranch_execnz .LBB91_85
.LBB91_35:                              ;   in Loop: Header=BB91_8 Depth=1
	s_or_b32 exec_lo, exec_lo, s15
	s_and_saveexec_b32 s15, s4
	s_cbranch_execnz .LBB91_86
.LBB91_36:                              ;   in Loop: Header=BB91_8 Depth=1
	s_or_b32 exec_lo, exec_lo, s15
	s_and_saveexec_b32 s15, s3
	s_cbranch_execnz .LBB91_87
.LBB91_37:                              ;   in Loop: Header=BB91_8 Depth=1
	s_or_b32 exec_lo, exec_lo, s15
	s_and_saveexec_b32 s15, s2
	s_cbranch_execnz .LBB91_88
.LBB91_38:                              ;   in Loop: Header=BB91_8 Depth=1
	s_or_b32 exec_lo, exec_lo, s15
	s_and_saveexec_b32 s15, s1
	s_cbranch_execnz .LBB91_89
.LBB91_39:                              ;   in Loop: Header=BB91_8 Depth=1
	s_or_b32 exec_lo, exec_lo, s15
	s_and_saveexec_b32 s15, s0
	s_cbranch_execnz .LBB91_90
.LBB91_40:                              ;   in Loop: Header=BB91_8 Depth=1
	s_or_b32 exec_lo, exec_lo, s15
	s_and_saveexec_b32 s15, vcc_lo
	s_cbranch_execz .LBB91_42
.LBB91_41:                              ;   in Loop: Header=BB91_8 Depth=1
	global_load_u8 v101, v[2:3], off offset:480
.LBB91_42:                              ;   in Loop: Header=BB91_8 Depth=1
	s_or_b32 exec_lo, exec_lo, s15
	s_waitcnt vmcnt(0)
	ds_store_b8 v47, v5
	ds_store_b8 v77, v102
	;; [unrolled: 1-line block ×16, first 2 shown]
	; wave barrier
	ds_load_b128 v[2:5], v48
	v_add_co_u32 v24, s15, v72, v18
	s_delay_alu instid0(VALU_DEP_1)
	v_add_co_ci_u32_e64 v25, s15, 0, v73, s15
	v_dual_mov_b32 v91, 0x80 :: v_dual_mov_b32 v92, 0x80
	v_dual_mov_b32 v93, 0x80 :: v_dual_mov_b32 v94, 0x80
	;; [unrolled: 1-line block ×7, first 2 shown]
	v_mov_b32_e32 v105, 0x80
	s_waitcnt lgkmcnt(0)
	s_barrier
	buffer_gl0_inv
	s_and_saveexec_b32 s15, s14
	s_cbranch_execnz .LBB91_91
; %bb.43:                               ;   in Loop: Header=BB91_8 Depth=1
	s_or_b32 exec_lo, exec_lo, s15
	v_mov_b32_e32 v106, v91
	s_and_saveexec_b32 s14, s13
	s_cbranch_execnz .LBB91_92
.LBB91_44:                              ;   in Loop: Header=BB91_8 Depth=1
	s_or_b32 exec_lo, exec_lo, s14
	s_and_saveexec_b32 s13, s12
	s_cbranch_execnz .LBB91_93
.LBB91_45:                              ;   in Loop: Header=BB91_8 Depth=1
	s_or_b32 exec_lo, exec_lo, s13
	s_and_saveexec_b32 s12, s11
	s_cbranch_execnz .LBB91_94
.LBB91_46:                              ;   in Loop: Header=BB91_8 Depth=1
	s_or_b32 exec_lo, exec_lo, s12
	s_and_saveexec_b32 s11, s10
	s_cbranch_execnz .LBB91_95
.LBB91_47:                              ;   in Loop: Header=BB91_8 Depth=1
	s_or_b32 exec_lo, exec_lo, s11
	s_and_saveexec_b32 s10, s9
	s_cbranch_execnz .LBB91_96
.LBB91_48:                              ;   in Loop: Header=BB91_8 Depth=1
	s_or_b32 exec_lo, exec_lo, s10
	s_and_saveexec_b32 s9, s8
	s_cbranch_execnz .LBB91_97
.LBB91_49:                              ;   in Loop: Header=BB91_8 Depth=1
	s_or_b32 exec_lo, exec_lo, s9
	s_and_saveexec_b32 s8, s7
	s_cbranch_execnz .LBB91_98
.LBB91_50:                              ;   in Loop: Header=BB91_8 Depth=1
	s_or_b32 exec_lo, exec_lo, s8
	s_and_saveexec_b32 s7, s6
	s_cbranch_execnz .LBB91_99
.LBB91_51:                              ;   in Loop: Header=BB91_8 Depth=1
	s_or_b32 exec_lo, exec_lo, s7
	s_and_saveexec_b32 s6, s5
	s_cbranch_execnz .LBB91_100
.LBB91_52:                              ;   in Loop: Header=BB91_8 Depth=1
	s_or_b32 exec_lo, exec_lo, s6
	s_and_saveexec_b32 s5, s4
	s_cbranch_execnz .LBB91_101
.LBB91_53:                              ;   in Loop: Header=BB91_8 Depth=1
	s_or_b32 exec_lo, exec_lo, s5
	s_and_saveexec_b32 s4, s3
	s_cbranch_execnz .LBB91_102
.LBB91_54:                              ;   in Loop: Header=BB91_8 Depth=1
	s_or_b32 exec_lo, exec_lo, s4
	s_and_saveexec_b32 s3, s2
	s_cbranch_execnz .LBB91_103
.LBB91_55:                              ;   in Loop: Header=BB91_8 Depth=1
	s_or_b32 exec_lo, exec_lo, s3
	s_and_saveexec_b32 s2, s1
	s_cbranch_execnz .LBB91_104
.LBB91_56:                              ;   in Loop: Header=BB91_8 Depth=1
	s_or_b32 exec_lo, exec_lo, s2
	s_and_saveexec_b32 s1, s0
	s_cbranch_execnz .LBB91_105
.LBB91_57:                              ;   in Loop: Header=BB91_8 Depth=1
	s_or_b32 exec_lo, exec_lo, s1
	s_and_saveexec_b32 s0, vcc_lo
	s_cbranch_execz .LBB91_59
.LBB91_58:                              ;   in Loop: Header=BB91_8 Depth=1
	global_load_u8 v105, v[24:25], off offset:480
.LBB91_59:                              ;   in Loop: Header=BB91_8 Depth=1
	s_or_b32 exec_lo, exec_lo, s0
	s_waitcnt vmcnt(0)
	ds_store_b8 v47, v92
	ds_store_b8 v77, v106
	;; [unrolled: 1-line block ×16, first 2 shown]
	; wave barrier
	ds_load_b128 v[91:94], v48
	s_waitcnt lgkmcnt(0)
	s_barrier
	buffer_gl0_inv
	s_load_b32 s0, s[36:37], 0x0
	v_and_b32_e32 v24, 0xff, v2
	v_lshrrev_b32_e32 v95, 6, v2
	v_lshrrev_b32_e32 v96, 14, v2
	v_mul_f32_e32 v101, s48, v22
	s_delay_alu instid0(VALU_DEP_4) | instskip(NEXT) | instid1(VALU_DEP_4)
	v_dual_mul_f32 v23, s48, v23 :: v_dual_lshlrev_b32 v24, 2, v24
	v_and_b32_e32 v95, 0x3fc, v95
	s_delay_alu instid0(VALU_DEP_4)
	v_and_b32_e32 v96, 0x3fc, v96
	v_lshrrev_b32_e32 v2, 22, v2
	v_bfe_u32 v97, v3, 8, 8
	ds_load_b32 v24, v24 offset:16896
	ds_load_b32 v95, v95 offset:16896
	;; [unrolled: 1-line block ×3, first 2 shown]
	v_and_b32_e32 v25, 0xff, v3
	v_bfe_u32 v98, v3, 16, 8
	v_lshrrev_b32_e32 v3, 22, v3
	v_and_b32_e32 v2, 0x3fc, v2
	v_dual_mul_f32 v103, s48, v20 :: v_dual_and_b32 v22, 0xff, v5
	v_lshlrev_b32_e32 v25, 2, v25
	v_lshlrev_b32_e32 v98, 2, v98
	v_and_b32_e32 v3, 0x3fc, v3
	v_lshrrev_b32_e32 v104, 6, v4
	v_mul_f32_e32 v105, s48, v14
	v_bfe_u32 v102, v5, 8, 8
	v_dual_mul_f32 v106, s48, v12 :: v_dual_mul_f32 v107, s48, v13
	v_mul_f32_e32 v108, s48, v8
	s_and_not1_b32 vcc_lo, exec_lo, s47
	v_dual_mul_f32 v109, s48, v9 :: v_dual_and_b32 v104, 0x3fc, v104
	s_waitcnt lgkmcnt(0)
	v_dual_mul_f32 v96, s0, v96 :: v_dual_and_b32 v113, 0xff, v93
	s_delay_alu instid0(VALU_DEP_1)
	v_dual_mul_f32 v20, s44, v96 :: v_dual_lshlrev_b32 v97, 2, v97
	ds_load_b32 v99, v2 offset:16896
	ds_load_b32 v25, v25 offset:16896
	;; [unrolled: 1-line block ×5, first 2 shown]
	v_dual_mul_f32 v3, s0, v95 :: v_dual_mul_f32 v2, s0, v24
	v_and_b32_e32 v24, 0xff, v4
	v_fmac_f32_e32 v20, v50, v103
	v_bfe_u32 v95, v5, 16, 8
	s_delay_alu instid0(VALU_DEP_4) | instskip(SKIP_3) | instid1(VALU_DEP_1)
	v_mul_f32_e32 v3, s44, v3
	v_lshrrev_b32_e32 v5, 22, v5
	v_mul_f32_e32 v2, s44, v2
	s_waitcnt lgkmcnt(4)
	v_dual_fmac_f32 v2, v50, v101 :: v_dual_mul_f32 v99, s0, v99
	s_waitcnt lgkmcnt(3)
	v_mul_f32_e32 v25, s0, v25
	v_dual_fmac_f32 v3, v50, v23 :: v_dual_lshlrev_b32 v24, 2, v24
	s_delay_alu instid0(VALU_DEP_3) | instskip(NEXT) | instid1(VALU_DEP_3)
	v_dual_mul_f32 v96, s48, v21 :: v_dual_mul_f32 v21, s44, v99
	v_dual_mul_f32 v99, s48, v16 :: v_dual_mul_f32 v16, s44, v25
	s_waitcnt lgkmcnt(2)
	v_mul_f32_e32 v25, s0, v97
	ds_load_b32 v24, v24 offset:16896
	s_waitcnt lgkmcnt(2)
	v_dual_fmac_f32 v21, v50, v96 :: v_dual_mul_f32 v98, s0, v98
	v_dual_fmac_f32 v16, v50, v99 :: v_dual_mul_f32 v97, s48, v17
	v_mul_f32_e32 v17, s44, v25
	v_lshrrev_b32_e32 v25, 14, v4
	s_delay_alu instid0(VALU_DEP_4)
	v_mul_f32_e32 v14, s44, v98
	v_lshrrev_b32_e32 v4, 22, v4
	ds_load_b32 v98, v104 offset:16896
	v_fmac_f32_e32 v17, v50, v97
	v_dual_mul_f32 v112, s48, v7 :: v_dual_and_b32 v25, 0x3fc, v25
	v_and_b32_e32 v4, 0x3fc, v4
	ds_load_b32 v25, v25 offset:16896
	v_mul_f32_e32 v104, s48, v15
	v_dual_fmac_f32 v14, v50, v105 :: v_dual_lshlrev_b32 v15, 2, v22
	v_lshlrev_b32_e32 v22, 2, v102
	ds_load_b32 v102, v4 offset:16896
	ds_load_b32 v15, v15 offset:16896
	s_waitcnt lgkmcnt(4)
	v_dual_mul_f32 v24, s0, v24 :: v_dual_lshlrev_b32 v95, 2, v95
	v_dual_mul_f32 v5, s0, v100 :: v_dual_and_b32 v4, 0x3fc, v5
	ds_load_b32 v22, v22 offset:16896
	ds_load_b32 v95, v95 offset:16896
	;; [unrolled: 1-line block ×3, first 2 shown]
	s_waitcnt lgkmcnt(6)
	v_mul_f32_e32 v98, s0, v98
	s_load_b32 s1, s[38:39], 0x0
	v_dual_mul_f32 v4, s44, v5 :: v_dual_mul_f32 v5, s44, v24
	s_waitcnt lgkmcnt(0)
	s_delay_alu instid0(VALU_DEP_2) | instskip(NEXT) | instid1(VALU_DEP_2)
	v_dual_mul_f32 v25, s0, v25 :: v_dual_mul_f32 v12, s44, v98
	v_fmac_f32_e32 v5, v50, v106
	s_delay_alu instid0(VALU_DEP_3) | instskip(SKIP_1) | instid1(VALU_DEP_4)
	v_dual_fmac_f32 v4, v50, v104 :: v_dual_mul_f32 v13, s0, v102
	v_dual_mul_f32 v98, s48, v10 :: v_dual_mul_f32 v15, s0, v15
	v_fmac_f32_e32 v12, v50, v107
	s_delay_alu instid0(VALU_DEP_2) | instskip(SKIP_4) | instid1(VALU_DEP_3)
	v_mul_f32_e32 v8, s44, v15
	v_lshrrev_b32_e32 v15, 6, v91
	v_mul_f32_e32 v22, s0, v22
	v_dual_mul_f32 v10, s44, v25 :: v_dual_and_b32 v25, 0xff, v92
	v_mul_f32_e32 v110, s48, v6
	v_dual_mul_f32 v9, s44, v22 :: v_dual_mul_f32 v102, s48, v11
	s_delay_alu instid0(VALU_DEP_3) | instskip(SKIP_1) | instid1(VALU_DEP_3)
	v_dual_mul_f32 v11, s44, v13 :: v_dual_fmac_f32 v10, v50, v98
	v_and_b32_e32 v13, 0xff, v91
	v_fmac_f32_e32 v9, v50, v109
	v_lshrrev_b32_e32 v22, 22, v91
	s_delay_alu instid0(VALU_DEP_4)
	v_fmac_f32_e32 v11, v50, v102
	v_lshlrev_b32_e32 v25, 2, v25
	v_lshlrev_b32_e32 v6, 2, v13
	v_and_b32_e32 v13, 0x3fc, v15
	v_lshrrev_b32_e32 v15, 14, v91
	v_fmac_f32_e32 v8, v50, v108
	v_lshrrev_b32_e32 v91, 6, v92
	ds_load_b32 v6, v6 offset:17920
	ds_load_b32 v13, v13 offset:17920
	v_and_b32_e32 v15, 0x3fc, v15
	v_and_b32_e32 v91, 0x3fc, v91
	ds_load_b32 v15, v15 offset:17920
	v_and_b32_e32 v22, 0x3fc, v22
	ds_load_b32 v111, v22 offset:17920
	v_mul_f32_e32 v22, s0, v100
	s_delay_alu instid0(VALU_DEP_1) | instskip(SKIP_1) | instid1(VALU_DEP_1)
	v_mul_f32_e32 v7, s44, v22
	s_waitcnt lgkmcnt(3)
	v_dual_mul_f32 v100, s1, v6 :: v_dual_fmac_f32 v7, v50, v112
	v_mul_f32_e32 v24, s0, v95
	v_lshrrev_b32_e32 v95, 14, v92
	s_waitcnt lgkmcnt(1)
	v_mul_f32_e32 v15, s1, v15
	v_lshrrev_b32_e32 v92, 22, v92
	s_delay_alu instid0(VALU_DEP_3) | instskip(SKIP_1) | instid1(VALU_DEP_4)
	v_dual_mul_f32 v6, s44, v24 :: v_dual_and_b32 v95, 0x3fc, v95
	v_dual_mul_f32 v24, s1, v13 :: v_dual_mul_f32 v13, s45, v100
	v_dual_mul_f32 v100, v51, v101 :: v_dual_mul_f32 v15, s45, v15
	s_delay_alu instid0(VALU_DEP_4) | instskip(NEXT) | instid1(VALU_DEP_2)
	v_and_b32_e32 v92, 0x3fc, v92
	v_fmac_f32_e32 v13, v101, v100
	s_delay_alu instid0(VALU_DEP_4) | instskip(SKIP_4) | instid1(VALU_DEP_3)
	v_mul_f32_e32 v22, s45, v24
	v_mul_f32_e32 v24, v51, v23
	;; [unrolled: 1-line block ×4, first 2 shown]
	s_waitcnt lgkmcnt(0)
	v_dual_fmac_f32 v22, v23, v24 :: v_dual_mul_f32 v23, s1, v111
	ds_load_b32 v25, v25 offset:17920
	ds_load_b32 v91, v91 offset:17920
	;; [unrolled: 1-line block ×4, first 2 shown]
	v_dual_fmac_f32 v6, v50, v110 :: v_dual_mul_f32 v111, v51, v97
	s_waitcnt lgkmcnt(3)
	v_dual_mul_f32 v23, s45, v23 :: v_dual_mul_f32 v24, s1, v25
	s_waitcnt lgkmcnt(2)
	v_mul_f32_e32 v25, s1, v91
	v_mul_f32_e32 v91, v51, v96
	s_waitcnt lgkmcnt(0)
	v_mul_f32_e32 v92, s1, v92
	s_delay_alu instid0(VALU_DEP_3) | instskip(NEXT) | instid1(VALU_DEP_3)
	v_dual_mul_f32 v24, s45, v24 :: v_dual_mul_f32 v25, s45, v25
	v_fmac_f32_e32 v23, v96, v91
	v_lshrrev_b32_e32 v96, 6, v93
	v_lshlrev_b32_e32 v91, 2, v113
	s_delay_alu instid0(VALU_DEP_4) | instskip(SKIP_1) | instid1(VALU_DEP_4)
	v_dual_fmac_f32 v24, v99, v101 :: v_dual_fmac_f32 v25, v97, v111
	v_lshrrev_b32_e32 v97, 14, v93
	v_and_b32_e32 v96, 0x3fc, v96
	v_lshrrev_b32_e32 v93, 22, v93
	v_and_b32_e32 v99, 0xff, v94
	ds_load_b32 v91, v91 offset:17920
	v_dual_mul_f32 v92, s45, v92 :: v_dual_and_b32 v97, 0x3fc, v97
	ds_load_b32 v96, v96 offset:17920
	v_fmac_f32_e32 v15, v103, v100
	v_lshrrev_b32_e32 v100, 6, v94
	ds_load_b32 v97, v97 offset:17920
	v_and_b32_e32 v93, 0x3fc, v93
	v_lshrrev_b32_e32 v101, 14, v94
	v_lshrrev_b32_e32 v94, 22, v94
	v_lshlrev_b32_e32 v99, 2, v99
	v_dual_mul_f32 v95, s1, v95 :: v_dual_and_b32 v100, 0x3fc, v100
	ds_load_b32 v103, v93 offset:17920
	v_and_b32_e32 v93, 0x3fc, v101
	v_and_b32_e32 v94, 0x3fc, v94
	ds_load_b32 v99, v99 offset:17920
	ds_load_b32 v100, v100 offset:17920
	ds_load_b32 v101, v93 offset:17920
	ds_load_b32 v111, v94 offset:17920
	v_mul_f32_e32 v94, v51, v105
	v_mul_f32_e32 v113, v51, v106
	s_waitcnt lgkmcnt(7)
	v_mul_f32_e32 v93, s1, v91
	v_mul_f32_e32 v91, s45, v95
	;; [unrolled: 1-line block ×3, first 2 shown]
	s_waitcnt lgkmcnt(6)
	s_delay_alu instid0(VALU_DEP_2) | instskip(NEXT) | instid1(VALU_DEP_1)
	v_dual_fmac_f32 v91, v105, v94 :: v_dual_mul_f32 v94, s1, v96
	v_mul_f32_e32 v94, s45, v94
	s_waitcnt lgkmcnt(4)
	v_dual_mul_f32 v96, s1, v103 :: v_dual_mul_f32 v93, s45, v93
	v_fmac_f32_e32 v92, v104, v95
	s_waitcnt lgkmcnt(3)
	v_dual_mul_f32 v104, v51, v102 :: v_dual_mul_f32 v99, s1, v99
	s_delay_alu instid0(VALU_DEP_3) | instskip(NEXT) | instid1(VALU_DEP_1)
	v_dual_mul_f32 v96, s45, v96 :: v_dual_mul_f32 v95, s1, v97
	v_dual_mul_f32 v97, v51, v107 :: v_dual_fmac_f32 v96, v102, v104
	s_delay_alu instid0(VALU_DEP_2) | instskip(SKIP_2) | instid1(VALU_DEP_1)
	v_dual_mul_f32 v95, s45, v95 :: v_dual_mul_f32 v104, v51, v110
	s_waitcnt lgkmcnt(0)
	v_dual_mul_f32 v103, v51, v98 :: v_dual_mul_f32 v102, s1, v111
	v_dual_fmac_f32 v95, v98, v103 :: v_dual_mul_f32 v98, s1, v100
	v_fmac_f32_e32 v93, v106, v113
	v_mul_f32_e32 v100, s1, v101
	v_dual_fmac_f32 v94, v107, v97 :: v_dual_mul_f32 v97, s45, v99
	s_delay_alu instid0(VALU_DEP_4) | instskip(NEXT) | instid1(VALU_DEP_3)
	v_mul_f32_e32 v99, s45, v98
	v_dual_mul_f32 v103, v51, v109 :: v_dual_mul_f32 v98, s45, v100
	v_mul_f32_e32 v100, s45, v102
	v_mul_f32_e32 v102, v51, v112
	;; [unrolled: 1-line block ×3, first 2 shown]
	s_delay_alu instid0(VALU_DEP_4) | instskip(NEXT) | instid1(VALU_DEP_3)
	v_dual_fmac_f32 v99, v109, v103 :: v_dual_fmac_f32 v98, v110, v104
	v_fmac_f32_e32 v100, v112, v102
	s_delay_alu instid0(VALU_DEP_3)
	v_fmac_f32_e32 v97, v108, v101
	s_cbranch_vccnz .LBB91_7
; %bb.60:                               ;   in Loop: Header=BB91_8 Depth=1
	v_dual_mul_f32 v101, v89, v2 :: v_dual_mul_f32 v102, v90, v13
	s_delay_alu instid0(VALU_DEP_1) | instskip(SKIP_1) | instid1(VALU_DEP_1)
	v_cmp_gt_f32_e32 vcc_lo, 0xf800000, v102
	v_mul_f32_e32 v103, 0x4f800000, v102
	v_cndmask_b32_e32 v102, v102, v103, vcc_lo
	s_delay_alu instid0(VALU_DEP_1) | instskip(SKIP_2) | instid1(VALU_DEP_1)
	v_sqrt_f32_e32 v103, v102
	s_waitcnt_depctr 0xfff
	v_add_nc_u32_e32 v104, -1, v103
	v_fma_f32 v105, -v104, v103, v102
	s_delay_alu instid0(VALU_DEP_1) | instskip(SKIP_1) | instid1(VALU_DEP_2)
	v_cmp_ge_f32_e64 s0, 0, v105
	v_add_nc_u32_e32 v105, 1, v103
	v_cndmask_b32_e64 v104, v103, v104, s0
	s_delay_alu instid0(VALU_DEP_2) | instskip(NEXT) | instid1(VALU_DEP_1)
	v_fma_f32 v103, -v105, v103, v102
	v_cmp_lt_f32_e64 s0, 0, v103
	s_delay_alu instid0(VALU_DEP_1) | instskip(NEXT) | instid1(VALU_DEP_1)
	v_cndmask_b32_e64 v103, v104, v105, s0
	v_mul_f32_e32 v104, 0x37800000, v103
	s_delay_alu instid0(VALU_DEP_1) | instskip(SKIP_1) | instid1(VALU_DEP_2)
	v_cndmask_b32_e32 v103, v103, v104, vcc_lo
	v_cmp_class_f32_e64 vcc_lo, v102, 0x260
	v_cndmask_b32_e32 v102, v103, v102, vcc_lo
	s_delay_alu instid0(VALU_DEP_1) | instskip(NEXT) | instid1(VALU_DEP_1)
	v_add_f32_e32 v102, s46, v102
	v_div_scale_f32 v103, null, v102, v102, v101
	s_delay_alu instid0(VALU_DEP_1) | instskip(SKIP_2) | instid1(VALU_DEP_1)
	v_rcp_f32_e32 v104, v103
	s_waitcnt_depctr 0xfff
	v_fma_f32 v105, -v103, v104, 1.0
	v_fmac_f32_e32 v104, v105, v104
	v_div_scale_f32 v105, vcc_lo, v101, v102, v101
	s_delay_alu instid0(VALU_DEP_1) | instskip(NEXT) | instid1(VALU_DEP_1)
	v_mul_f32_e32 v106, v105, v104
	v_fma_f32 v107, -v103, v106, v105
	s_delay_alu instid0(VALU_DEP_1) | instskip(NEXT) | instid1(VALU_DEP_1)
	v_fmac_f32_e32 v106, v107, v104
	v_fma_f32 v103, -v103, v106, v105
	s_delay_alu instid0(VALU_DEP_1) | instskip(NEXT) | instid1(VALU_DEP_1)
	v_div_fmas_f32 v103, v103, v104, v106
	v_div_fixup_f32 v101, v103, v102, v101
	v_mul_f32_e32 v102, v90, v22
	s_delay_alu instid0(VALU_DEP_1) | instskip(SKIP_1) | instid1(VALU_DEP_1)
	v_cmp_gt_f32_e32 vcc_lo, 0xf800000, v102
	v_mul_f32_e32 v103, 0x4f800000, v102
	v_cndmask_b32_e32 v102, v102, v103, vcc_lo
	s_delay_alu instid0(VALU_DEP_1) | instskip(SKIP_2) | instid1(VALU_DEP_1)
	v_sqrt_f32_e32 v103, v102
	s_waitcnt_depctr 0xfff
	v_add_nc_u32_e32 v104, -1, v103
	v_fma_f32 v105, -v104, v103, v102
	s_delay_alu instid0(VALU_DEP_1) | instskip(SKIP_1) | instid1(VALU_DEP_2)
	v_cmp_ge_f32_e64 s0, 0, v105
	v_add_nc_u32_e32 v105, 1, v103
	v_cndmask_b32_e64 v104, v103, v104, s0
	s_delay_alu instid0(VALU_DEP_2) | instskip(NEXT) | instid1(VALU_DEP_1)
	v_fma_f32 v103, -v105, v103, v102
	v_cmp_lt_f32_e64 s0, 0, v103
	s_delay_alu instid0(VALU_DEP_1) | instskip(NEXT) | instid1(VALU_DEP_1)
	v_cndmask_b32_e64 v103, v104, v105, s0
	v_mul_f32_e32 v104, 0x37800000, v103
	v_fmac_f32_e32 v28, v101, v101
	v_mul_f32_e32 v101, v89, v3
	s_delay_alu instid0(VALU_DEP_3) | instskip(SKIP_1) | instid1(VALU_DEP_2)
	v_cndmask_b32_e32 v103, v103, v104, vcc_lo
	v_cmp_class_f32_e64 vcc_lo, v102, 0x260
	v_cndmask_b32_e32 v102, v103, v102, vcc_lo
	s_delay_alu instid0(VALU_DEP_1) | instskip(NEXT) | instid1(VALU_DEP_1)
	v_add_f32_e32 v102, s46, v102
	v_div_scale_f32 v103, null, v102, v102, v101
	s_delay_alu instid0(VALU_DEP_1) | instskip(SKIP_2) | instid1(VALU_DEP_1)
	v_rcp_f32_e32 v104, v103
	s_waitcnt_depctr 0xfff
	v_fma_f32 v105, -v103, v104, 1.0
	v_fmac_f32_e32 v104, v105, v104
	v_div_scale_f32 v105, vcc_lo, v101, v102, v101
	s_delay_alu instid0(VALU_DEP_1) | instskip(NEXT) | instid1(VALU_DEP_1)
	v_mul_f32_e32 v106, v105, v104
	v_fma_f32 v107, -v103, v106, v105
	s_delay_alu instid0(VALU_DEP_1) | instskip(NEXT) | instid1(VALU_DEP_1)
	v_fmac_f32_e32 v106, v107, v104
	v_fma_f32 v103, -v103, v106, v105
	s_delay_alu instid0(VALU_DEP_1) | instskip(NEXT) | instid1(VALU_DEP_1)
	v_div_fmas_f32 v103, v103, v104, v106
	v_div_fixup_f32 v101, v103, v102, v101
	v_mul_f32_e32 v102, v90, v15
	s_delay_alu instid0(VALU_DEP_2) | instskip(NEXT) | instid1(VALU_DEP_2)
	v_fmac_f32_e32 v28, v101, v101
	v_cmp_gt_f32_e32 vcc_lo, 0xf800000, v102
	v_mul_f32_e32 v103, 0x4f800000, v102
	s_delay_alu instid0(VALU_DEP_1) | instskip(NEXT) | instid1(VALU_DEP_1)
	v_dual_mul_f32 v101, v89, v20 :: v_dual_cndmask_b32 v102, v102, v103
	v_sqrt_f32_e32 v103, v102
	s_waitcnt_depctr 0xfff
	v_add_nc_u32_e32 v104, -1, v103
	s_delay_alu instid0(VALU_DEP_1) | instskip(NEXT) | instid1(VALU_DEP_1)
	v_fma_f32 v105, -v104, v103, v102
	v_cmp_ge_f32_e64 s0, 0, v105
	v_add_nc_u32_e32 v105, 1, v103
	s_delay_alu instid0(VALU_DEP_2) | instskip(NEXT) | instid1(VALU_DEP_2)
	v_cndmask_b32_e64 v104, v103, v104, s0
	v_fma_f32 v103, -v105, v103, v102
	s_delay_alu instid0(VALU_DEP_1) | instskip(NEXT) | instid1(VALU_DEP_1)
	v_cmp_lt_f32_e64 s0, 0, v103
	v_cndmask_b32_e64 v103, v104, v105, s0
	s_delay_alu instid0(VALU_DEP_1) | instskip(NEXT) | instid1(VALU_DEP_1)
	v_mul_f32_e32 v104, 0x37800000, v103
	v_cndmask_b32_e32 v103, v103, v104, vcc_lo
	v_cmp_class_f32_e64 vcc_lo, v102, 0x260
	s_delay_alu instid0(VALU_DEP_2) | instskip(NEXT) | instid1(VALU_DEP_1)
	v_cndmask_b32_e32 v102, v103, v102, vcc_lo
	v_add_f32_e32 v102, s46, v102
	s_delay_alu instid0(VALU_DEP_1) | instskip(NEXT) | instid1(VALU_DEP_1)
	v_div_scale_f32 v103, null, v102, v102, v101
	v_rcp_f32_e32 v104, v103
	s_waitcnt_depctr 0xfff
	v_fma_f32 v105, -v103, v104, 1.0
	s_delay_alu instid0(VALU_DEP_1) | instskip(SKIP_1) | instid1(VALU_DEP_1)
	v_fmac_f32_e32 v104, v105, v104
	v_div_scale_f32 v105, vcc_lo, v101, v102, v101
	v_mul_f32_e32 v106, v105, v104
	s_delay_alu instid0(VALU_DEP_1) | instskip(NEXT) | instid1(VALU_DEP_1)
	v_fma_f32 v107, -v103, v106, v105
	v_fmac_f32_e32 v106, v107, v104
	s_delay_alu instid0(VALU_DEP_1) | instskip(NEXT) | instid1(VALU_DEP_1)
	v_fma_f32 v103, -v103, v106, v105
	v_div_fmas_f32 v103, v103, v104, v106
	s_delay_alu instid0(VALU_DEP_1) | instskip(SKIP_1) | instid1(VALU_DEP_2)
	v_div_fixup_f32 v101, v103, v102, v101
	v_mul_f32_e32 v102, v90, v23
	v_fmac_f32_e32 v28, v101, v101
	s_delay_alu instid0(VALU_DEP_2) | instskip(SKIP_1) | instid1(VALU_DEP_1)
	v_cmp_gt_f32_e32 vcc_lo, 0xf800000, v102
	v_mul_f32_e32 v103, 0x4f800000, v102
	v_dual_mul_f32 v101, v89, v21 :: v_dual_cndmask_b32 v102, v102, v103
	s_delay_alu instid0(VALU_DEP_1) | instskip(SKIP_2) | instid1(VALU_DEP_1)
	v_sqrt_f32_e32 v103, v102
	s_waitcnt_depctr 0xfff
	v_add_nc_u32_e32 v104, -1, v103
	v_fma_f32 v105, -v104, v103, v102
	s_delay_alu instid0(VALU_DEP_1) | instskip(SKIP_1) | instid1(VALU_DEP_2)
	v_cmp_ge_f32_e64 s0, 0, v105
	v_add_nc_u32_e32 v105, 1, v103
	v_cndmask_b32_e64 v104, v103, v104, s0
	s_delay_alu instid0(VALU_DEP_2) | instskip(NEXT) | instid1(VALU_DEP_1)
	v_fma_f32 v103, -v105, v103, v102
	v_cmp_lt_f32_e64 s0, 0, v103
	s_delay_alu instid0(VALU_DEP_1) | instskip(NEXT) | instid1(VALU_DEP_1)
	v_cndmask_b32_e64 v103, v104, v105, s0
	v_mul_f32_e32 v104, 0x37800000, v103
	s_delay_alu instid0(VALU_DEP_1) | instskip(SKIP_1) | instid1(VALU_DEP_2)
	v_cndmask_b32_e32 v103, v103, v104, vcc_lo
	v_cmp_class_f32_e64 vcc_lo, v102, 0x260
	v_cndmask_b32_e32 v102, v103, v102, vcc_lo
	s_delay_alu instid0(VALU_DEP_1) | instskip(NEXT) | instid1(VALU_DEP_1)
	v_add_f32_e32 v102, s46, v102
	v_div_scale_f32 v103, null, v102, v102, v101
	s_delay_alu instid0(VALU_DEP_1) | instskip(SKIP_2) | instid1(VALU_DEP_1)
	v_rcp_f32_e32 v104, v103
	s_waitcnt_depctr 0xfff
	v_fma_f32 v105, -v103, v104, 1.0
	v_fmac_f32_e32 v104, v105, v104
	v_div_scale_f32 v105, vcc_lo, v101, v102, v101
	s_delay_alu instid0(VALU_DEP_1) | instskip(NEXT) | instid1(VALU_DEP_1)
	v_mul_f32_e32 v106, v105, v104
	v_fma_f32 v107, -v103, v106, v105
	s_delay_alu instid0(VALU_DEP_1) | instskip(NEXT) | instid1(VALU_DEP_1)
	v_fmac_f32_e32 v106, v107, v104
	v_fma_f32 v103, -v103, v106, v105
	s_delay_alu instid0(VALU_DEP_1) | instskip(NEXT) | instid1(VALU_DEP_1)
	v_div_fmas_f32 v103, v103, v104, v106
	v_div_fixup_f32 v101, v103, v102, v101
	v_mul_f32_e32 v102, v90, v24
	s_delay_alu instid0(VALU_DEP_2) | instskip(NEXT) | instid1(VALU_DEP_2)
	v_fmac_f32_e32 v28, v101, v101
	v_cmp_gt_f32_e32 vcc_lo, 0xf800000, v102
	v_mul_f32_e32 v103, 0x4f800000, v102
	s_delay_alu instid0(VALU_DEP_1) | instskip(NEXT) | instid1(VALU_DEP_1)
	v_dual_mul_f32 v101, v89, v16 :: v_dual_cndmask_b32 v102, v102, v103
	v_sqrt_f32_e32 v103, v102
	s_waitcnt_depctr 0xfff
	v_add_nc_u32_e32 v104, -1, v103
	s_delay_alu instid0(VALU_DEP_1) | instskip(NEXT) | instid1(VALU_DEP_1)
	v_fma_f32 v105, -v104, v103, v102
	v_cmp_ge_f32_e64 s0, 0, v105
	v_add_nc_u32_e32 v105, 1, v103
	s_delay_alu instid0(VALU_DEP_2) | instskip(NEXT) | instid1(VALU_DEP_2)
	v_cndmask_b32_e64 v104, v103, v104, s0
	v_fma_f32 v103, -v105, v103, v102
	s_delay_alu instid0(VALU_DEP_1) | instskip(NEXT) | instid1(VALU_DEP_1)
	v_cmp_lt_f32_e64 s0, 0, v103
	v_cndmask_b32_e64 v103, v104, v105, s0
	s_delay_alu instid0(VALU_DEP_1) | instskip(NEXT) | instid1(VALU_DEP_1)
	v_mul_f32_e32 v104, 0x37800000, v103
	v_cndmask_b32_e32 v103, v103, v104, vcc_lo
	v_cmp_class_f32_e64 vcc_lo, v102, 0x260
	s_delay_alu instid0(VALU_DEP_2) | instskip(NEXT) | instid1(VALU_DEP_1)
	v_cndmask_b32_e32 v102, v103, v102, vcc_lo
	v_add_f32_e32 v102, s46, v102
	s_delay_alu instid0(VALU_DEP_1) | instskip(NEXT) | instid1(VALU_DEP_1)
	v_div_scale_f32 v103, null, v102, v102, v101
	v_rcp_f32_e32 v104, v103
	s_waitcnt_depctr 0xfff
	v_fma_f32 v105, -v103, v104, 1.0
	s_delay_alu instid0(VALU_DEP_1) | instskip(SKIP_1) | instid1(VALU_DEP_1)
	v_fmac_f32_e32 v104, v105, v104
	v_div_scale_f32 v105, vcc_lo, v101, v102, v101
	v_mul_f32_e32 v106, v105, v104
	s_delay_alu instid0(VALU_DEP_1) | instskip(NEXT) | instid1(VALU_DEP_1)
	v_fma_f32 v107, -v103, v106, v105
	v_fmac_f32_e32 v106, v107, v104
	s_delay_alu instid0(VALU_DEP_1) | instskip(NEXT) | instid1(VALU_DEP_1)
	v_fma_f32 v103, -v103, v106, v105
	v_div_fmas_f32 v103, v103, v104, v106
	s_delay_alu instid0(VALU_DEP_1) | instskip(SKIP_1) | instid1(VALU_DEP_2)
	v_div_fixup_f32 v101, v103, v102, v101
	v_mul_f32_e32 v102, v90, v25
	v_fmac_f32_e32 v28, v101, v101
	s_delay_alu instid0(VALU_DEP_2) | instskip(SKIP_1) | instid1(VALU_DEP_1)
	v_cmp_gt_f32_e32 vcc_lo, 0xf800000, v102
	v_mul_f32_e32 v103, 0x4f800000, v102
	v_dual_mul_f32 v101, v89, v17 :: v_dual_cndmask_b32 v102, v102, v103
	s_delay_alu instid0(VALU_DEP_1) | instskip(SKIP_2) | instid1(VALU_DEP_1)
	v_sqrt_f32_e32 v103, v102
	s_waitcnt_depctr 0xfff
	v_add_nc_u32_e32 v104, -1, v103
	v_fma_f32 v105, -v104, v103, v102
	s_delay_alu instid0(VALU_DEP_1) | instskip(SKIP_1) | instid1(VALU_DEP_2)
	v_cmp_ge_f32_e64 s0, 0, v105
	v_add_nc_u32_e32 v105, 1, v103
	v_cndmask_b32_e64 v104, v103, v104, s0
	s_delay_alu instid0(VALU_DEP_2) | instskip(NEXT) | instid1(VALU_DEP_1)
	v_fma_f32 v103, -v105, v103, v102
	v_cmp_lt_f32_e64 s0, 0, v103
	s_delay_alu instid0(VALU_DEP_1) | instskip(NEXT) | instid1(VALU_DEP_1)
	v_cndmask_b32_e64 v103, v104, v105, s0
	v_mul_f32_e32 v104, 0x37800000, v103
	s_delay_alu instid0(VALU_DEP_1) | instskip(SKIP_1) | instid1(VALU_DEP_2)
	v_cndmask_b32_e32 v103, v103, v104, vcc_lo
	v_cmp_class_f32_e64 vcc_lo, v102, 0x260
	v_cndmask_b32_e32 v102, v103, v102, vcc_lo
	s_delay_alu instid0(VALU_DEP_1) | instskip(NEXT) | instid1(VALU_DEP_1)
	v_add_f32_e32 v102, s46, v102
	v_div_scale_f32 v103, null, v102, v102, v101
	s_delay_alu instid0(VALU_DEP_1) | instskip(SKIP_2) | instid1(VALU_DEP_1)
	v_rcp_f32_e32 v104, v103
	s_waitcnt_depctr 0xfff
	v_fma_f32 v105, -v103, v104, 1.0
	v_fmac_f32_e32 v104, v105, v104
	v_div_scale_f32 v105, vcc_lo, v101, v102, v101
	s_delay_alu instid0(VALU_DEP_1) | instskip(NEXT) | instid1(VALU_DEP_1)
	v_mul_f32_e32 v106, v105, v104
	v_fma_f32 v107, -v103, v106, v105
	s_delay_alu instid0(VALU_DEP_1) | instskip(NEXT) | instid1(VALU_DEP_1)
	v_fmac_f32_e32 v106, v107, v104
	v_fma_f32 v103, -v103, v106, v105
	s_delay_alu instid0(VALU_DEP_1) | instskip(NEXT) | instid1(VALU_DEP_1)
	v_div_fmas_f32 v103, v103, v104, v106
	v_div_fixup_f32 v101, v103, v102, v101
	v_mul_f32_e32 v102, v90, v91
	s_delay_alu instid0(VALU_DEP_2) | instskip(NEXT) | instid1(VALU_DEP_2)
	v_fmac_f32_e32 v28, v101, v101
	v_cmp_gt_f32_e32 vcc_lo, 0xf800000, v102
	v_mul_f32_e32 v103, 0x4f800000, v102
	s_delay_alu instid0(VALU_DEP_1) | instskip(NEXT) | instid1(VALU_DEP_1)
	v_dual_mul_f32 v101, v89, v14 :: v_dual_cndmask_b32 v102, v102, v103
	v_sqrt_f32_e32 v103, v102
	s_waitcnt_depctr 0xfff
	v_add_nc_u32_e32 v104, -1, v103
	s_delay_alu instid0(VALU_DEP_1) | instskip(NEXT) | instid1(VALU_DEP_1)
	v_fma_f32 v105, -v104, v103, v102
	v_cmp_ge_f32_e64 s0, 0, v105
	v_add_nc_u32_e32 v105, 1, v103
	s_delay_alu instid0(VALU_DEP_2) | instskip(NEXT) | instid1(VALU_DEP_2)
	v_cndmask_b32_e64 v104, v103, v104, s0
	v_fma_f32 v103, -v105, v103, v102
	s_delay_alu instid0(VALU_DEP_1) | instskip(NEXT) | instid1(VALU_DEP_1)
	v_cmp_lt_f32_e64 s0, 0, v103
	v_cndmask_b32_e64 v103, v104, v105, s0
	s_delay_alu instid0(VALU_DEP_1) | instskip(NEXT) | instid1(VALU_DEP_1)
	v_mul_f32_e32 v104, 0x37800000, v103
	v_cndmask_b32_e32 v103, v103, v104, vcc_lo
	v_cmp_class_f32_e64 vcc_lo, v102, 0x260
	s_delay_alu instid0(VALU_DEP_2) | instskip(NEXT) | instid1(VALU_DEP_1)
	v_cndmask_b32_e32 v102, v103, v102, vcc_lo
	v_add_f32_e32 v102, s46, v102
	s_delay_alu instid0(VALU_DEP_1) | instskip(NEXT) | instid1(VALU_DEP_1)
	v_div_scale_f32 v103, null, v102, v102, v101
	v_rcp_f32_e32 v104, v103
	s_waitcnt_depctr 0xfff
	v_fma_f32 v105, -v103, v104, 1.0
	s_delay_alu instid0(VALU_DEP_1) | instskip(SKIP_1) | instid1(VALU_DEP_1)
	v_fmac_f32_e32 v104, v105, v104
	v_div_scale_f32 v105, vcc_lo, v101, v102, v101
	v_mul_f32_e32 v106, v105, v104
	s_delay_alu instid0(VALU_DEP_1) | instskip(NEXT) | instid1(VALU_DEP_1)
	v_fma_f32 v107, -v103, v106, v105
	v_fmac_f32_e32 v106, v107, v104
	s_delay_alu instid0(VALU_DEP_1) | instskip(NEXT) | instid1(VALU_DEP_1)
	v_fma_f32 v103, -v103, v106, v105
	v_div_fmas_f32 v103, v103, v104, v106
	s_delay_alu instid0(VALU_DEP_1) | instskip(SKIP_1) | instid1(VALU_DEP_2)
	v_div_fixup_f32 v101, v103, v102, v101
	v_mul_f32_e32 v102, v90, v92
	v_fmac_f32_e32 v28, v101, v101
	s_delay_alu instid0(VALU_DEP_2) | instskip(SKIP_1) | instid1(VALU_DEP_1)
	v_cmp_gt_f32_e32 vcc_lo, 0xf800000, v102
	v_mul_f32_e32 v103, 0x4f800000, v102
	v_dual_mul_f32 v101, v89, v4 :: v_dual_cndmask_b32 v102, v102, v103
	s_delay_alu instid0(VALU_DEP_1) | instskip(SKIP_2) | instid1(VALU_DEP_1)
	v_sqrt_f32_e32 v103, v102
	s_waitcnt_depctr 0xfff
	v_add_nc_u32_e32 v104, -1, v103
	v_fma_f32 v105, -v104, v103, v102
	s_delay_alu instid0(VALU_DEP_1) | instskip(SKIP_1) | instid1(VALU_DEP_2)
	v_cmp_ge_f32_e64 s0, 0, v105
	v_add_nc_u32_e32 v105, 1, v103
	v_cndmask_b32_e64 v104, v103, v104, s0
	s_delay_alu instid0(VALU_DEP_2) | instskip(NEXT) | instid1(VALU_DEP_1)
	v_fma_f32 v103, -v105, v103, v102
	v_cmp_lt_f32_e64 s0, 0, v103
	s_delay_alu instid0(VALU_DEP_1) | instskip(NEXT) | instid1(VALU_DEP_1)
	v_cndmask_b32_e64 v103, v104, v105, s0
	v_mul_f32_e32 v104, 0x37800000, v103
	s_delay_alu instid0(VALU_DEP_1) | instskip(SKIP_1) | instid1(VALU_DEP_2)
	v_cndmask_b32_e32 v103, v103, v104, vcc_lo
	v_cmp_class_f32_e64 vcc_lo, v102, 0x260
	v_cndmask_b32_e32 v102, v103, v102, vcc_lo
	s_delay_alu instid0(VALU_DEP_1) | instskip(NEXT) | instid1(VALU_DEP_1)
	v_add_f32_e32 v102, s46, v102
	v_div_scale_f32 v103, null, v102, v102, v101
	s_delay_alu instid0(VALU_DEP_1) | instskip(SKIP_2) | instid1(VALU_DEP_1)
	v_rcp_f32_e32 v104, v103
	s_waitcnt_depctr 0xfff
	v_fma_f32 v105, -v103, v104, 1.0
	v_fmac_f32_e32 v104, v105, v104
	v_div_scale_f32 v105, vcc_lo, v101, v102, v101
	s_delay_alu instid0(VALU_DEP_1) | instskip(NEXT) | instid1(VALU_DEP_1)
	v_mul_f32_e32 v106, v105, v104
	v_fma_f32 v107, -v103, v106, v105
	s_delay_alu instid0(VALU_DEP_1) | instskip(NEXT) | instid1(VALU_DEP_1)
	v_fmac_f32_e32 v106, v107, v104
	v_fma_f32 v103, -v103, v106, v105
	s_delay_alu instid0(VALU_DEP_1) | instskip(NEXT) | instid1(VALU_DEP_1)
	v_div_fmas_f32 v103, v103, v104, v106
	v_div_fixup_f32 v101, v103, v102, v101
	v_mul_f32_e32 v102, v90, v93
	s_delay_alu instid0(VALU_DEP_2) | instskip(NEXT) | instid1(VALU_DEP_2)
	v_fmac_f32_e32 v28, v101, v101
	v_cmp_gt_f32_e32 vcc_lo, 0xf800000, v102
	v_mul_f32_e32 v103, 0x4f800000, v102
	s_delay_alu instid0(VALU_DEP_1) | instskip(NEXT) | instid1(VALU_DEP_1)
	v_dual_mul_f32 v101, v89, v5 :: v_dual_cndmask_b32 v102, v102, v103
	v_sqrt_f32_e32 v103, v102
	s_waitcnt_depctr 0xfff
	v_add_nc_u32_e32 v104, -1, v103
	s_delay_alu instid0(VALU_DEP_1) | instskip(NEXT) | instid1(VALU_DEP_1)
	v_fma_f32 v105, -v104, v103, v102
	v_cmp_ge_f32_e64 s0, 0, v105
	v_add_nc_u32_e32 v105, 1, v103
	s_delay_alu instid0(VALU_DEP_2) | instskip(NEXT) | instid1(VALU_DEP_2)
	v_cndmask_b32_e64 v104, v103, v104, s0
	v_fma_f32 v103, -v105, v103, v102
	s_delay_alu instid0(VALU_DEP_1) | instskip(NEXT) | instid1(VALU_DEP_1)
	v_cmp_lt_f32_e64 s0, 0, v103
	v_cndmask_b32_e64 v103, v104, v105, s0
	s_delay_alu instid0(VALU_DEP_1) | instskip(NEXT) | instid1(VALU_DEP_1)
	v_mul_f32_e32 v104, 0x37800000, v103
	v_cndmask_b32_e32 v103, v103, v104, vcc_lo
	v_cmp_class_f32_e64 vcc_lo, v102, 0x260
	s_delay_alu instid0(VALU_DEP_2) | instskip(NEXT) | instid1(VALU_DEP_1)
	v_cndmask_b32_e32 v102, v103, v102, vcc_lo
	v_add_f32_e32 v102, s46, v102
	s_delay_alu instid0(VALU_DEP_1) | instskip(NEXT) | instid1(VALU_DEP_1)
	v_div_scale_f32 v103, null, v102, v102, v101
	v_rcp_f32_e32 v104, v103
	s_waitcnt_depctr 0xfff
	v_fma_f32 v105, -v103, v104, 1.0
	s_delay_alu instid0(VALU_DEP_1) | instskip(SKIP_1) | instid1(VALU_DEP_1)
	v_fmac_f32_e32 v104, v105, v104
	v_div_scale_f32 v105, vcc_lo, v101, v102, v101
	v_mul_f32_e32 v106, v105, v104
	s_delay_alu instid0(VALU_DEP_1) | instskip(NEXT) | instid1(VALU_DEP_1)
	v_fma_f32 v107, -v103, v106, v105
	v_fmac_f32_e32 v106, v107, v104
	s_delay_alu instid0(VALU_DEP_1) | instskip(NEXT) | instid1(VALU_DEP_1)
	v_fma_f32 v103, -v103, v106, v105
	v_div_fmas_f32 v103, v103, v104, v106
	s_delay_alu instid0(VALU_DEP_1) | instskip(SKIP_1) | instid1(VALU_DEP_2)
	v_div_fixup_f32 v101, v103, v102, v101
	v_mul_f32_e32 v102, v90, v94
	v_fmac_f32_e32 v28, v101, v101
	s_delay_alu instid0(VALU_DEP_2) | instskip(SKIP_1) | instid1(VALU_DEP_1)
	v_cmp_gt_f32_e32 vcc_lo, 0xf800000, v102
	v_mul_f32_e32 v103, 0x4f800000, v102
	v_dual_mul_f32 v101, v89, v12 :: v_dual_cndmask_b32 v102, v102, v103
	s_delay_alu instid0(VALU_DEP_1) | instskip(SKIP_2) | instid1(VALU_DEP_1)
	v_sqrt_f32_e32 v103, v102
	s_waitcnt_depctr 0xfff
	v_add_nc_u32_e32 v104, -1, v103
	v_fma_f32 v105, -v104, v103, v102
	s_delay_alu instid0(VALU_DEP_1) | instskip(SKIP_1) | instid1(VALU_DEP_2)
	v_cmp_ge_f32_e64 s0, 0, v105
	v_add_nc_u32_e32 v105, 1, v103
	v_cndmask_b32_e64 v104, v103, v104, s0
	s_delay_alu instid0(VALU_DEP_2) | instskip(NEXT) | instid1(VALU_DEP_1)
	v_fma_f32 v103, -v105, v103, v102
	v_cmp_lt_f32_e64 s0, 0, v103
	s_delay_alu instid0(VALU_DEP_1) | instskip(NEXT) | instid1(VALU_DEP_1)
	v_cndmask_b32_e64 v103, v104, v105, s0
	v_mul_f32_e32 v104, 0x37800000, v103
	s_delay_alu instid0(VALU_DEP_1) | instskip(SKIP_1) | instid1(VALU_DEP_2)
	v_cndmask_b32_e32 v103, v103, v104, vcc_lo
	v_cmp_class_f32_e64 vcc_lo, v102, 0x260
	v_cndmask_b32_e32 v102, v103, v102, vcc_lo
	s_delay_alu instid0(VALU_DEP_1) | instskip(NEXT) | instid1(VALU_DEP_1)
	v_add_f32_e32 v102, s46, v102
	v_div_scale_f32 v103, null, v102, v102, v101
	s_delay_alu instid0(VALU_DEP_1) | instskip(SKIP_2) | instid1(VALU_DEP_1)
	v_rcp_f32_e32 v104, v103
	s_waitcnt_depctr 0xfff
	v_fma_f32 v105, -v103, v104, 1.0
	v_fmac_f32_e32 v104, v105, v104
	v_div_scale_f32 v105, vcc_lo, v101, v102, v101
	s_delay_alu instid0(VALU_DEP_1) | instskip(NEXT) | instid1(VALU_DEP_1)
	v_mul_f32_e32 v106, v105, v104
	v_fma_f32 v107, -v103, v106, v105
	s_delay_alu instid0(VALU_DEP_1) | instskip(NEXT) | instid1(VALU_DEP_1)
	v_fmac_f32_e32 v106, v107, v104
	v_fma_f32 v103, -v103, v106, v105
	s_delay_alu instid0(VALU_DEP_1) | instskip(NEXT) | instid1(VALU_DEP_1)
	v_div_fmas_f32 v103, v103, v104, v106
	v_div_fixup_f32 v101, v103, v102, v101
	v_mul_f32_e32 v102, v90, v95
	s_delay_alu instid0(VALU_DEP_2) | instskip(NEXT) | instid1(VALU_DEP_2)
	v_fmac_f32_e32 v28, v101, v101
	v_cmp_gt_f32_e32 vcc_lo, 0xf800000, v102
	v_mul_f32_e32 v103, 0x4f800000, v102
	s_delay_alu instid0(VALU_DEP_1) | instskip(NEXT) | instid1(VALU_DEP_1)
	v_dual_mul_f32 v101, v89, v10 :: v_dual_cndmask_b32 v102, v102, v103
	v_sqrt_f32_e32 v103, v102
	s_waitcnt_depctr 0xfff
	v_add_nc_u32_e32 v104, -1, v103
	s_delay_alu instid0(VALU_DEP_1) | instskip(NEXT) | instid1(VALU_DEP_1)
	v_fma_f32 v105, -v104, v103, v102
	v_cmp_ge_f32_e64 s0, 0, v105
	v_add_nc_u32_e32 v105, 1, v103
	s_delay_alu instid0(VALU_DEP_2) | instskip(NEXT) | instid1(VALU_DEP_2)
	v_cndmask_b32_e64 v104, v103, v104, s0
	v_fma_f32 v103, -v105, v103, v102
	s_delay_alu instid0(VALU_DEP_1) | instskip(NEXT) | instid1(VALU_DEP_1)
	v_cmp_lt_f32_e64 s0, 0, v103
	v_cndmask_b32_e64 v103, v104, v105, s0
	s_delay_alu instid0(VALU_DEP_1) | instskip(NEXT) | instid1(VALU_DEP_1)
	v_mul_f32_e32 v104, 0x37800000, v103
	v_cndmask_b32_e32 v103, v103, v104, vcc_lo
	v_cmp_class_f32_e64 vcc_lo, v102, 0x260
	s_delay_alu instid0(VALU_DEP_2) | instskip(NEXT) | instid1(VALU_DEP_1)
	v_cndmask_b32_e32 v102, v103, v102, vcc_lo
	v_add_f32_e32 v102, s46, v102
	s_delay_alu instid0(VALU_DEP_1) | instskip(NEXT) | instid1(VALU_DEP_1)
	v_div_scale_f32 v103, null, v102, v102, v101
	v_rcp_f32_e32 v104, v103
	s_waitcnt_depctr 0xfff
	v_fma_f32 v105, -v103, v104, 1.0
	s_delay_alu instid0(VALU_DEP_1) | instskip(SKIP_1) | instid1(VALU_DEP_1)
	v_fmac_f32_e32 v104, v105, v104
	v_div_scale_f32 v105, vcc_lo, v101, v102, v101
	v_mul_f32_e32 v106, v105, v104
	s_delay_alu instid0(VALU_DEP_1) | instskip(NEXT) | instid1(VALU_DEP_1)
	v_fma_f32 v107, -v103, v106, v105
	v_fmac_f32_e32 v106, v107, v104
	s_delay_alu instid0(VALU_DEP_1) | instskip(NEXT) | instid1(VALU_DEP_1)
	v_fma_f32 v103, -v103, v106, v105
	v_div_fmas_f32 v103, v103, v104, v106
	s_delay_alu instid0(VALU_DEP_1) | instskip(SKIP_1) | instid1(VALU_DEP_2)
	v_div_fixup_f32 v101, v103, v102, v101
	v_mul_f32_e32 v102, v90, v96
	v_fmac_f32_e32 v28, v101, v101
	s_delay_alu instid0(VALU_DEP_2) | instskip(SKIP_2) | instid1(VALU_DEP_2)
	v_cmp_gt_f32_e32 vcc_lo, 0xf800000, v102
	v_mul_f32_e32 v103, 0x4f800000, v102
	v_mul_f32_e32 v101, v89, v11
	v_cndmask_b32_e32 v102, v102, v103, vcc_lo
	s_delay_alu instid0(VALU_DEP_1) | instskip(SKIP_2) | instid1(VALU_DEP_1)
	v_sqrt_f32_e32 v103, v102
	s_waitcnt_depctr 0xfff
	v_add_nc_u32_e32 v104, -1, v103
	v_fma_f32 v105, -v104, v103, v102
	s_delay_alu instid0(VALU_DEP_1) | instskip(SKIP_1) | instid1(VALU_DEP_2)
	v_cmp_ge_f32_e64 s0, 0, v105
	v_add_nc_u32_e32 v105, 1, v103
	v_cndmask_b32_e64 v104, v103, v104, s0
	s_delay_alu instid0(VALU_DEP_2) | instskip(NEXT) | instid1(VALU_DEP_1)
	v_fma_f32 v103, -v105, v103, v102
	v_cmp_lt_f32_e64 s0, 0, v103
	s_delay_alu instid0(VALU_DEP_1) | instskip(NEXT) | instid1(VALU_DEP_1)
	v_cndmask_b32_e64 v103, v104, v105, s0
	v_mul_f32_e32 v104, 0x37800000, v103
	s_delay_alu instid0(VALU_DEP_1) | instskip(SKIP_1) | instid1(VALU_DEP_2)
	v_cndmask_b32_e32 v103, v103, v104, vcc_lo
	v_cmp_class_f32_e64 vcc_lo, v102, 0x260
	v_cndmask_b32_e32 v102, v103, v102, vcc_lo
	s_delay_alu instid0(VALU_DEP_1) | instskip(NEXT) | instid1(VALU_DEP_1)
	v_add_f32_e32 v102, s46, v102
	v_div_scale_f32 v103, null, v102, v102, v101
	s_delay_alu instid0(VALU_DEP_1) | instskip(SKIP_2) | instid1(VALU_DEP_1)
	v_rcp_f32_e32 v104, v103
	s_waitcnt_depctr 0xfff
	v_fma_f32 v105, -v103, v104, 1.0
	v_fmac_f32_e32 v104, v105, v104
	v_div_scale_f32 v105, vcc_lo, v101, v102, v101
	s_delay_alu instid0(VALU_DEP_1) | instskip(NEXT) | instid1(VALU_DEP_1)
	v_mul_f32_e32 v106, v105, v104
	v_fma_f32 v107, -v103, v106, v105
	s_delay_alu instid0(VALU_DEP_1) | instskip(NEXT) | instid1(VALU_DEP_1)
	v_fmac_f32_e32 v106, v107, v104
	v_fma_f32 v103, -v103, v106, v105
	s_delay_alu instid0(VALU_DEP_1) | instskip(NEXT) | instid1(VALU_DEP_1)
	v_div_fmas_f32 v103, v103, v104, v106
	v_div_fixup_f32 v101, v103, v102, v101
	v_mul_f32_e32 v102, v90, v97
	s_delay_alu instid0(VALU_DEP_2) | instskip(NEXT) | instid1(VALU_DEP_2)
	v_fmac_f32_e32 v28, v101, v101
	v_cmp_gt_f32_e32 vcc_lo, 0xf800000, v102
	v_mul_f32_e32 v103, 0x4f800000, v102
	s_delay_alu instid0(VALU_DEP_1) | instskip(NEXT) | instid1(VALU_DEP_1)
	v_dual_mul_f32 v101, v89, v8 :: v_dual_cndmask_b32 v102, v102, v103
	v_sqrt_f32_e32 v103, v102
	s_waitcnt_depctr 0xfff
	v_add_nc_u32_e32 v104, -1, v103
	s_delay_alu instid0(VALU_DEP_1) | instskip(NEXT) | instid1(VALU_DEP_1)
	v_fma_f32 v105, -v104, v103, v102
	v_cmp_ge_f32_e64 s0, 0, v105
	v_add_nc_u32_e32 v105, 1, v103
	s_delay_alu instid0(VALU_DEP_2) | instskip(NEXT) | instid1(VALU_DEP_2)
	v_cndmask_b32_e64 v104, v103, v104, s0
	v_fma_f32 v103, -v105, v103, v102
	s_delay_alu instid0(VALU_DEP_1) | instskip(NEXT) | instid1(VALU_DEP_1)
	v_cmp_lt_f32_e64 s0, 0, v103
	v_cndmask_b32_e64 v103, v104, v105, s0
	s_delay_alu instid0(VALU_DEP_1) | instskip(NEXT) | instid1(VALU_DEP_1)
	v_mul_f32_e32 v104, 0x37800000, v103
	v_cndmask_b32_e32 v103, v103, v104, vcc_lo
	v_cmp_class_f32_e64 vcc_lo, v102, 0x260
	s_delay_alu instid0(VALU_DEP_2) | instskip(NEXT) | instid1(VALU_DEP_1)
	v_cndmask_b32_e32 v102, v103, v102, vcc_lo
	v_add_f32_e32 v102, s46, v102
	s_delay_alu instid0(VALU_DEP_1) | instskip(NEXT) | instid1(VALU_DEP_1)
	v_div_scale_f32 v103, null, v102, v102, v101
	v_rcp_f32_e32 v104, v103
	s_waitcnt_depctr 0xfff
	v_fma_f32 v105, -v103, v104, 1.0
	s_delay_alu instid0(VALU_DEP_1) | instskip(SKIP_1) | instid1(VALU_DEP_1)
	v_fmac_f32_e32 v104, v105, v104
	v_div_scale_f32 v105, vcc_lo, v101, v102, v101
	v_mul_f32_e32 v106, v105, v104
	s_delay_alu instid0(VALU_DEP_1) | instskip(NEXT) | instid1(VALU_DEP_1)
	v_fma_f32 v107, -v103, v106, v105
	v_fmac_f32_e32 v106, v107, v104
	s_delay_alu instid0(VALU_DEP_1) | instskip(NEXT) | instid1(VALU_DEP_1)
	v_fma_f32 v103, -v103, v106, v105
	v_div_fmas_f32 v103, v103, v104, v106
	s_delay_alu instid0(VALU_DEP_1) | instskip(SKIP_1) | instid1(VALU_DEP_2)
	v_div_fixup_f32 v101, v103, v102, v101
	v_mul_f32_e32 v102, v90, v99
	v_fmac_f32_e32 v28, v101, v101
	s_delay_alu instid0(VALU_DEP_2) | instskip(SKIP_1) | instid1(VALU_DEP_1)
	v_cmp_gt_f32_e32 vcc_lo, 0xf800000, v102
	v_mul_f32_e32 v103, 0x4f800000, v102
	v_dual_mul_f32 v101, v89, v9 :: v_dual_cndmask_b32 v102, v102, v103
	s_delay_alu instid0(VALU_DEP_1) | instskip(SKIP_2) | instid1(VALU_DEP_1)
	v_sqrt_f32_e32 v103, v102
	s_waitcnt_depctr 0xfff
	v_add_nc_u32_e32 v104, -1, v103
	v_fma_f32 v105, -v104, v103, v102
	s_delay_alu instid0(VALU_DEP_1) | instskip(SKIP_1) | instid1(VALU_DEP_2)
	v_cmp_ge_f32_e64 s0, 0, v105
	v_add_nc_u32_e32 v105, 1, v103
	v_cndmask_b32_e64 v104, v103, v104, s0
	s_delay_alu instid0(VALU_DEP_2) | instskip(NEXT) | instid1(VALU_DEP_1)
	v_fma_f32 v103, -v105, v103, v102
	v_cmp_lt_f32_e64 s0, 0, v103
	s_delay_alu instid0(VALU_DEP_1) | instskip(NEXT) | instid1(VALU_DEP_1)
	v_cndmask_b32_e64 v103, v104, v105, s0
	v_mul_f32_e32 v104, 0x37800000, v103
	s_delay_alu instid0(VALU_DEP_1) | instskip(SKIP_1) | instid1(VALU_DEP_2)
	v_cndmask_b32_e32 v103, v103, v104, vcc_lo
	v_cmp_class_f32_e64 vcc_lo, v102, 0x260
	v_cndmask_b32_e32 v102, v103, v102, vcc_lo
	s_delay_alu instid0(VALU_DEP_1) | instskip(NEXT) | instid1(VALU_DEP_1)
	v_add_f32_e32 v102, s46, v102
	v_div_scale_f32 v103, null, v102, v102, v101
	s_delay_alu instid0(VALU_DEP_1) | instskip(SKIP_2) | instid1(VALU_DEP_1)
	v_rcp_f32_e32 v104, v103
	s_waitcnt_depctr 0xfff
	v_fma_f32 v105, -v103, v104, 1.0
	v_fmac_f32_e32 v104, v105, v104
	v_div_scale_f32 v105, vcc_lo, v101, v102, v101
	s_delay_alu instid0(VALU_DEP_1) | instskip(NEXT) | instid1(VALU_DEP_1)
	v_mul_f32_e32 v106, v105, v104
	v_fma_f32 v107, -v103, v106, v105
	s_delay_alu instid0(VALU_DEP_1) | instskip(NEXT) | instid1(VALU_DEP_1)
	v_fmac_f32_e32 v106, v107, v104
	v_fma_f32 v103, -v103, v106, v105
	s_delay_alu instid0(VALU_DEP_1) | instskip(NEXT) | instid1(VALU_DEP_1)
	v_div_fmas_f32 v103, v103, v104, v106
	v_div_fixup_f32 v101, v103, v102, v101
	v_mul_f32_e32 v102, v90, v98
	s_delay_alu instid0(VALU_DEP_2) | instskip(NEXT) | instid1(VALU_DEP_2)
	v_fmac_f32_e32 v28, v101, v101
	v_cmp_gt_f32_e32 vcc_lo, 0xf800000, v102
	v_mul_f32_e32 v103, 0x4f800000, v102
	s_delay_alu instid0(VALU_DEP_1) | instskip(NEXT) | instid1(VALU_DEP_1)
	v_dual_mul_f32 v101, v89, v6 :: v_dual_cndmask_b32 v102, v102, v103
	v_sqrt_f32_e32 v103, v102
	s_waitcnt_depctr 0xfff
	v_add_nc_u32_e32 v104, -1, v103
	s_delay_alu instid0(VALU_DEP_1) | instskip(NEXT) | instid1(VALU_DEP_1)
	v_fma_f32 v105, -v104, v103, v102
	v_cmp_ge_f32_e64 s0, 0, v105
	v_add_nc_u32_e32 v105, 1, v103
	s_delay_alu instid0(VALU_DEP_2) | instskip(NEXT) | instid1(VALU_DEP_2)
	v_cndmask_b32_e64 v104, v103, v104, s0
	v_fma_f32 v103, -v105, v103, v102
	s_delay_alu instid0(VALU_DEP_1) | instskip(NEXT) | instid1(VALU_DEP_1)
	v_cmp_lt_f32_e64 s0, 0, v103
	v_cndmask_b32_e64 v103, v104, v105, s0
	s_delay_alu instid0(VALU_DEP_1) | instskip(NEXT) | instid1(VALU_DEP_1)
	v_mul_f32_e32 v104, 0x37800000, v103
	v_cndmask_b32_e32 v103, v103, v104, vcc_lo
	v_cmp_class_f32_e64 vcc_lo, v102, 0x260
	s_delay_alu instid0(VALU_DEP_2) | instskip(NEXT) | instid1(VALU_DEP_1)
	v_cndmask_b32_e32 v102, v103, v102, vcc_lo
	v_add_f32_e32 v102, s46, v102
	s_delay_alu instid0(VALU_DEP_1) | instskip(NEXT) | instid1(VALU_DEP_1)
	v_div_scale_f32 v103, null, v102, v102, v101
	v_rcp_f32_e32 v104, v103
	s_waitcnt_depctr 0xfff
	v_fma_f32 v105, -v103, v104, 1.0
	s_delay_alu instid0(VALU_DEP_1) | instskip(SKIP_1) | instid1(VALU_DEP_1)
	v_fmac_f32_e32 v104, v105, v104
	v_div_scale_f32 v105, vcc_lo, v101, v102, v101
	v_mul_f32_e32 v106, v105, v104
	s_delay_alu instid0(VALU_DEP_1) | instskip(NEXT) | instid1(VALU_DEP_1)
	v_fma_f32 v107, -v103, v106, v105
	v_fmac_f32_e32 v106, v107, v104
	s_delay_alu instid0(VALU_DEP_1) | instskip(NEXT) | instid1(VALU_DEP_1)
	v_fma_f32 v103, -v103, v106, v105
	v_div_fmas_f32 v103, v103, v104, v106
	s_delay_alu instid0(VALU_DEP_1) | instskip(SKIP_1) | instid1(VALU_DEP_2)
	v_div_fixup_f32 v101, v103, v102, v101
	v_mul_f32_e32 v102, v90, v100
	v_fmac_f32_e32 v28, v101, v101
	s_delay_alu instid0(VALU_DEP_2) | instskip(SKIP_2) | instid1(VALU_DEP_2)
	v_cmp_gt_f32_e32 vcc_lo, 0xf800000, v102
	v_mul_f32_e32 v103, 0x4f800000, v102
	v_mul_f32_e32 v101, v89, v7
	v_cndmask_b32_e32 v102, v102, v103, vcc_lo
	s_delay_alu instid0(VALU_DEP_1) | instskip(SKIP_2) | instid1(VALU_DEP_1)
	v_sqrt_f32_e32 v103, v102
	s_waitcnt_depctr 0xfff
	v_add_nc_u32_e32 v104, -1, v103
	v_fma_f32 v105, -v104, v103, v102
	s_delay_alu instid0(VALU_DEP_1) | instskip(SKIP_1) | instid1(VALU_DEP_2)
	v_cmp_ge_f32_e64 s0, 0, v105
	v_add_nc_u32_e32 v105, 1, v103
	v_cndmask_b32_e64 v104, v103, v104, s0
	s_delay_alu instid0(VALU_DEP_2) | instskip(NEXT) | instid1(VALU_DEP_1)
	v_fma_f32 v103, -v105, v103, v102
	v_cmp_lt_f32_e64 s0, 0, v103
	s_delay_alu instid0(VALU_DEP_1) | instskip(NEXT) | instid1(VALU_DEP_1)
	v_cndmask_b32_e64 v103, v104, v105, s0
	v_mul_f32_e32 v104, 0x37800000, v103
	s_delay_alu instid0(VALU_DEP_1) | instskip(SKIP_1) | instid1(VALU_DEP_2)
	v_cndmask_b32_e32 v103, v103, v104, vcc_lo
	v_cmp_class_f32_e64 vcc_lo, v102, 0x260
	v_cndmask_b32_e32 v102, v103, v102, vcc_lo
	s_delay_alu instid0(VALU_DEP_1) | instskip(NEXT) | instid1(VALU_DEP_1)
	v_add_f32_e32 v102, s46, v102
	v_div_scale_f32 v103, null, v102, v102, v101
	s_delay_alu instid0(VALU_DEP_1) | instskip(SKIP_2) | instid1(VALU_DEP_1)
	v_rcp_f32_e32 v104, v103
	s_waitcnt_depctr 0xfff
	v_fma_f32 v105, -v103, v104, 1.0
	v_fmac_f32_e32 v104, v105, v104
	v_div_scale_f32 v105, vcc_lo, v101, v102, v101
	s_delay_alu instid0(VALU_DEP_1) | instskip(NEXT) | instid1(VALU_DEP_1)
	v_mul_f32_e32 v106, v105, v104
	v_fma_f32 v107, -v103, v106, v105
	s_delay_alu instid0(VALU_DEP_1) | instskip(NEXT) | instid1(VALU_DEP_1)
	v_fmac_f32_e32 v106, v107, v104
	v_fma_f32 v103, -v103, v106, v105
	s_delay_alu instid0(VALU_DEP_1) | instskip(NEXT) | instid1(VALU_DEP_1)
	v_div_fmas_f32 v103, v103, v104, v106
	v_div_fixup_f32 v101, v103, v102, v101
	s_delay_alu instid0(VALU_DEP_1)
	v_fmac_f32_e32 v28, v101, v101
	s_branch .LBB91_7
.LBB91_61:                              ;   in Loop: Header=BB91_8 Depth=1
	global_load_b32 v22, v[20:21], off
	v_mov_b32_e32 v15, v1
	v_mov_b32_e32 v2, v1
	;; [unrolled: 1-line block ×15, first 2 shown]
	s_delay_alu instid0(VALU_DEP_2)
	v_dual_mov_b32 v16, v14 :: v_dual_mov_b32 v15, v13
	v_mov_b32_e32 v14, v12
	v_mov_b32_e32 v13, v11
	;; [unrolled: 1-line block ×13, first 2 shown]
	s_or_b32 exec_lo, exec_lo, s0
	v_cmp_gt_u32_e64 s13, s50, v32
	s_delay_alu instid0(VALU_DEP_1)
	s_and_saveexec_b32 s0, s13
	s_cbranch_execz .LBB91_10
.LBB91_62:                              ;   in Loop: Header=BB91_8 Depth=1
	global_load_b32 v3, v[20:21], off offset:128
	s_or_b32 exec_lo, exec_lo, s0
	v_cmp_gt_u32_e64 s12, s50, v33
	s_delay_alu instid0(VALU_DEP_1)
	s_and_saveexec_b32 s0, s12
	s_cbranch_execz .LBB91_11
.LBB91_63:                              ;   in Loop: Header=BB91_8 Depth=1
	global_load_b32 v4, v[20:21], off offset:256
	s_or_b32 exec_lo, exec_lo, s0
	v_cmp_gt_u32_e64 s11, s50, v34
	s_delay_alu instid0(VALU_DEP_1)
	s_and_saveexec_b32 s0, s11
	s_cbranch_execz .LBB91_12
.LBB91_64:                              ;   in Loop: Header=BB91_8 Depth=1
	global_load_b32 v5, v[20:21], off offset:384
	s_or_b32 exec_lo, exec_lo, s0
	v_cmp_gt_u32_e64 s10, s50, v35
	s_delay_alu instid0(VALU_DEP_1)
	s_and_saveexec_b32 s0, s10
	s_cbranch_execz .LBB91_13
.LBB91_65:                              ;   in Loop: Header=BB91_8 Depth=1
	global_load_b32 v6, v[20:21], off offset:512
	s_or_b32 exec_lo, exec_lo, s0
	v_cmp_gt_u32_e64 s9, s50, v36
	s_delay_alu instid0(VALU_DEP_1)
	s_and_saveexec_b32 s0, s9
	s_cbranch_execz .LBB91_14
.LBB91_66:                              ;   in Loop: Header=BB91_8 Depth=1
	global_load_b32 v7, v[20:21], off offset:640
	s_or_b32 exec_lo, exec_lo, s0
	v_cmp_gt_u32_e64 s8, s50, v37
	s_delay_alu instid0(VALU_DEP_1)
	s_and_saveexec_b32 s0, s8
	s_cbranch_execz .LBB91_15
.LBB91_67:                              ;   in Loop: Header=BB91_8 Depth=1
	global_load_b32 v8, v[20:21], off offset:768
	s_or_b32 exec_lo, exec_lo, s0
	v_cmp_gt_u32_e64 s7, s50, v38
	s_delay_alu instid0(VALU_DEP_1)
	s_and_saveexec_b32 s0, s7
	s_cbranch_execz .LBB91_16
.LBB91_68:                              ;   in Loop: Header=BB91_8 Depth=1
	global_load_b32 v9, v[20:21], off offset:896
	s_or_b32 exec_lo, exec_lo, s0
	v_cmp_gt_u32_e64 s6, s50, v39
	s_delay_alu instid0(VALU_DEP_1)
	s_and_saveexec_b32 s0, s6
	s_cbranch_execz .LBB91_17
.LBB91_69:                              ;   in Loop: Header=BB91_8 Depth=1
	global_load_b32 v10, v[20:21], off offset:1024
	s_or_b32 exec_lo, exec_lo, s0
	v_cmp_gt_u32_e64 s5, s50, v40
	s_delay_alu instid0(VALU_DEP_1)
	s_and_saveexec_b32 s0, s5
	s_cbranch_execz .LBB91_18
.LBB91_70:                              ;   in Loop: Header=BB91_8 Depth=1
	global_load_b32 v11, v[20:21], off offset:1152
	s_or_b32 exec_lo, exec_lo, s0
	v_cmp_gt_u32_e64 s4, s50, v41
	s_delay_alu instid0(VALU_DEP_1)
	s_and_saveexec_b32 s0, s4
	s_cbranch_execz .LBB91_19
.LBB91_71:                              ;   in Loop: Header=BB91_8 Depth=1
	global_load_b32 v12, v[20:21], off offset:1280
	s_or_b32 exec_lo, exec_lo, s0
	v_cmp_gt_u32_e64 s3, s50, v42
	s_delay_alu instid0(VALU_DEP_1)
	s_and_saveexec_b32 s0, s3
	s_cbranch_execz .LBB91_20
.LBB91_72:                              ;   in Loop: Header=BB91_8 Depth=1
	global_load_b32 v13, v[20:21], off offset:1408
	s_or_b32 exec_lo, exec_lo, s0
	v_cmp_gt_u32_e64 s2, s50, v43
	s_delay_alu instid0(VALU_DEP_1)
	s_and_saveexec_b32 s0, s2
	s_cbranch_execz .LBB91_21
.LBB91_73:                              ;   in Loop: Header=BB91_8 Depth=1
	global_load_b32 v14, v[20:21], off offset:1536
	s_or_b32 exec_lo, exec_lo, s0
	v_cmp_gt_u32_e64 s1, s50, v44
	s_delay_alu instid0(VALU_DEP_1)
	s_and_saveexec_b32 s0, s1
	s_cbranch_execz .LBB91_22
.LBB91_74:                              ;   in Loop: Header=BB91_8 Depth=1
	global_load_b32 v15, v[20:21], off offset:1664
	s_or_b32 exec_lo, exec_lo, s0
	v_cmp_gt_u32_e64 s0, s50, v45
	s_delay_alu instid0(VALU_DEP_1)
	s_and_saveexec_b32 s15, s0
	s_cbranch_execz .LBB91_23
.LBB91_75:                              ;   in Loop: Header=BB91_8 Depth=1
	global_load_b32 v16, v[20:21], off offset:1792
	s_or_b32 exec_lo, exec_lo, s15
	v_cmp_gt_u32_e32 vcc_lo, s50, v46
	s_and_saveexec_b32 s15, vcc_lo
	s_cbranch_execnz .LBB91_24
	s_branch .LBB91_25
.LBB91_76:                              ;   in Loop: Header=BB91_8 Depth=1
	global_load_u8 v5, v[2:3], off
	v_dual_mov_b32 v4, 0x80 :: v_dual_mov_b32 v25, 0x80
	v_dual_mov_b32 v24, 0x80 :: v_dual_mov_b32 v91, 0x80
	;; [unrolled: 1-line block ×7, first 2 shown]
	s_or_b32 exec_lo, exec_lo, s15
	v_mov_b32_e32 v102, v4
	s_and_saveexec_b32 s15, s13
	s_cbranch_execz .LBB91_27
.LBB91_77:                              ;   in Loop: Header=BB91_8 Depth=1
	global_load_u8 v102, v[2:3], off offset:32
	s_or_b32 exec_lo, exec_lo, s15
	s_and_saveexec_b32 s15, s12
	s_cbranch_execz .LBB91_28
.LBB91_78:                              ;   in Loop: Header=BB91_8 Depth=1
	global_load_u8 v4, v[2:3], off offset:64
	s_or_b32 exec_lo, exec_lo, s15
	s_and_saveexec_b32 s15, s11
	s_cbranch_execz .LBB91_29
.LBB91_79:                              ;   in Loop: Header=BB91_8 Depth=1
	global_load_u8 v24, v[2:3], off offset:96
	s_or_b32 exec_lo, exec_lo, s15
	s_and_saveexec_b32 s15, s10
	s_cbranch_execz .LBB91_30
.LBB91_80:                              ;   in Loop: Header=BB91_8 Depth=1
	global_load_u8 v25, v[2:3], off offset:128
	s_or_b32 exec_lo, exec_lo, s15
	s_and_saveexec_b32 s15, s9
	s_cbranch_execz .LBB91_31
.LBB91_81:                              ;   in Loop: Header=BB91_8 Depth=1
	global_load_u8 v91, v[2:3], off offset:160
	s_or_b32 exec_lo, exec_lo, s15
	s_and_saveexec_b32 s15, s8
	s_cbranch_execz .LBB91_32
.LBB91_82:                              ;   in Loop: Header=BB91_8 Depth=1
	global_load_u8 v92, v[2:3], off offset:192
	s_or_b32 exec_lo, exec_lo, s15
	s_and_saveexec_b32 s15, s7
	s_cbranch_execz .LBB91_33
.LBB91_83:                              ;   in Loop: Header=BB91_8 Depth=1
	global_load_u8 v93, v[2:3], off offset:224
	s_or_b32 exec_lo, exec_lo, s15
	s_and_saveexec_b32 s15, s6
	s_cbranch_execz .LBB91_34
.LBB91_84:                              ;   in Loop: Header=BB91_8 Depth=1
	global_load_u8 v94, v[2:3], off offset:256
	s_or_b32 exec_lo, exec_lo, s15
	s_and_saveexec_b32 s15, s5
	s_cbranch_execz .LBB91_35
.LBB91_85:                              ;   in Loop: Header=BB91_8 Depth=1
	global_load_u8 v95, v[2:3], off offset:288
	s_or_b32 exec_lo, exec_lo, s15
	s_and_saveexec_b32 s15, s4
	s_cbranch_execz .LBB91_36
.LBB91_86:                              ;   in Loop: Header=BB91_8 Depth=1
	global_load_u8 v96, v[2:3], off offset:320
	s_or_b32 exec_lo, exec_lo, s15
	s_and_saveexec_b32 s15, s3
	s_cbranch_execz .LBB91_37
.LBB91_87:                              ;   in Loop: Header=BB91_8 Depth=1
	global_load_u8 v97, v[2:3], off offset:352
	s_or_b32 exec_lo, exec_lo, s15
	s_and_saveexec_b32 s15, s2
	s_cbranch_execz .LBB91_38
.LBB91_88:                              ;   in Loop: Header=BB91_8 Depth=1
	global_load_u8 v98, v[2:3], off offset:384
	s_or_b32 exec_lo, exec_lo, s15
	s_and_saveexec_b32 s15, s1
	s_cbranch_execz .LBB91_39
.LBB91_89:                              ;   in Loop: Header=BB91_8 Depth=1
	global_load_u8 v99, v[2:3], off offset:416
	s_or_b32 exec_lo, exec_lo, s15
	s_and_saveexec_b32 s15, s0
	s_cbranch_execz .LBB91_40
.LBB91_90:                              ;   in Loop: Header=BB91_8 Depth=1
	global_load_u8 v100, v[2:3], off offset:448
	s_or_b32 exec_lo, exec_lo, s15
	s_and_saveexec_b32 s15, vcc_lo
	s_cbranch_execnz .LBB91_41
	s_branch .LBB91_42
.LBB91_91:                              ;   in Loop: Header=BB91_8 Depth=1
	global_load_u8 v92, v[24:25], off
	v_dual_mov_b32 v91, 0x80 :: v_dual_mov_b32 v94, 0x80
	v_dual_mov_b32 v93, 0x80 :: v_dual_mov_b32 v96, 0x80
	;; [unrolled: 1-line block ×6, first 2 shown]
	v_mov_b32_e32 v103, 0x80
	v_mov_b32_e32 v105, 0x80
	s_or_b32 exec_lo, exec_lo, s15
	v_mov_b32_e32 v106, v91
	s_and_saveexec_b32 s14, s13
	s_cbranch_execz .LBB91_44
.LBB91_92:                              ;   in Loop: Header=BB91_8 Depth=1
	global_load_u8 v106, v[24:25], off offset:32
	s_or_b32 exec_lo, exec_lo, s14
	s_and_saveexec_b32 s13, s12
	s_cbranch_execz .LBB91_45
.LBB91_93:                              ;   in Loop: Header=BB91_8 Depth=1
	global_load_u8 v91, v[24:25], off offset:64
	s_or_b32 exec_lo, exec_lo, s13
	s_and_saveexec_b32 s12, s11
	s_cbranch_execz .LBB91_46
.LBB91_94:                              ;   in Loop: Header=BB91_8 Depth=1
	global_load_u8 v93, v[24:25], off offset:96
	s_or_b32 exec_lo, exec_lo, s12
	s_and_saveexec_b32 s11, s10
	s_cbranch_execz .LBB91_47
.LBB91_95:                              ;   in Loop: Header=BB91_8 Depth=1
	global_load_u8 v94, v[24:25], off offset:128
	s_or_b32 exec_lo, exec_lo, s11
	s_and_saveexec_b32 s10, s9
	s_cbranch_execz .LBB91_48
.LBB91_96:                              ;   in Loop: Header=BB91_8 Depth=1
	global_load_u8 v95, v[24:25], off offset:160
	s_or_b32 exec_lo, exec_lo, s10
	s_and_saveexec_b32 s9, s8
	s_cbranch_execz .LBB91_49
.LBB91_97:                              ;   in Loop: Header=BB91_8 Depth=1
	global_load_u8 v96, v[24:25], off offset:192
	s_or_b32 exec_lo, exec_lo, s9
	s_and_saveexec_b32 s8, s7
	s_cbranch_execz .LBB91_50
.LBB91_98:                              ;   in Loop: Header=BB91_8 Depth=1
	global_load_u8 v97, v[24:25], off offset:224
	s_or_b32 exec_lo, exec_lo, s8
	s_and_saveexec_b32 s7, s6
	s_cbranch_execz .LBB91_51
.LBB91_99:                              ;   in Loop: Header=BB91_8 Depth=1
	global_load_u8 v98, v[24:25], off offset:256
	s_or_b32 exec_lo, exec_lo, s7
	s_and_saveexec_b32 s6, s5
	s_cbranch_execz .LBB91_52
.LBB91_100:                             ;   in Loop: Header=BB91_8 Depth=1
	global_load_u8 v99, v[24:25], off offset:288
	s_or_b32 exec_lo, exec_lo, s6
	s_and_saveexec_b32 s5, s4
	s_cbranch_execz .LBB91_53
.LBB91_101:                             ;   in Loop: Header=BB91_8 Depth=1
	global_load_u8 v100, v[24:25], off offset:320
	s_or_b32 exec_lo, exec_lo, s5
	s_and_saveexec_b32 s4, s3
	s_cbranch_execz .LBB91_54
.LBB91_102:                             ;   in Loop: Header=BB91_8 Depth=1
	global_load_u8 v101, v[24:25], off offset:352
	s_or_b32 exec_lo, exec_lo, s4
	s_and_saveexec_b32 s3, s2
	s_cbranch_execz .LBB91_55
.LBB91_103:                             ;   in Loop: Header=BB91_8 Depth=1
	global_load_u8 v102, v[24:25], off offset:384
	s_or_b32 exec_lo, exec_lo, s3
	s_and_saveexec_b32 s2, s1
	s_cbranch_execz .LBB91_56
.LBB91_104:                             ;   in Loop: Header=BB91_8 Depth=1
	global_load_u8 v103, v[24:25], off offset:416
	s_or_b32 exec_lo, exec_lo, s2
	s_and_saveexec_b32 s1, s0
	s_cbranch_execz .LBB91_57
.LBB91_105:                             ;   in Loop: Header=BB91_8 Depth=1
	global_load_u8 v104, v[24:25], off offset:448
	s_or_b32 exec_lo, exec_lo, s1
	s_and_saveexec_b32 s0, vcc_lo
	s_cbranch_execnz .LBB91_58
	s_branch .LBB91_59
.LBB91_106:
	v_mov_b32_e32 v1, v27
.LBB91_107:
	s_delay_alu instid0(VALU_DEP_2) | instskip(NEXT) | instid1(VALU_DEP_2)
	v_cmp_ne_u32_e32 vcc_lo, 31, v26
	v_sub_nc_u32_e64 v1, s50, v1 clamp
	v_add_nc_u32_e32 v5, 1, v26
	s_waitcnt lgkmcnt(0)
	s_barrier
	v_add_co_ci_u32_e32 v2, vcc_lo, 0, v26, vcc_lo
	v_cmp_gt_u32_e32 vcc_lo, 30, v26
	v_cmp_lt_u32_e64 s0, v5, v1
	buffer_gl0_inv
	v_lshlrev_b32_e32 v2, 2, v2
	v_cndmask_b32_e64 v4, 0, 1, vcc_lo
	ds_bpermute_b32 v3, v2, v29
	v_lshlrev_b32_e32 v4, 1, v4
	s_delay_alu instid0(VALU_DEP_1) | instskip(SKIP_4) | instid1(VALU_DEP_2)
	v_add_lshl_u32 v4, v4, v26, 2
	s_waitcnt lgkmcnt(0)
	v_cmp_lt_f32_e32 vcc_lo, v29, v3
	v_cndmask_b32_e32 v3, v29, v3, vcc_lo
	v_cmp_gt_u32_e32 vcc_lo, 28, v26
	v_cndmask_b32_e64 v3, v29, v3, s0
	v_cndmask_b32_e64 v6, 0, 1, vcc_lo
	ds_bpermute_b32 v5, v4, v3
	v_lshlrev_b32_e32 v6, 2, v6
	s_waitcnt lgkmcnt(0)
	v_cmp_lt_f32_e32 vcc_lo, v3, v5
	v_dual_cndmask_b32 v8, v3, v5 :: v_dual_add_nc_u32 v7, 2, v26
	s_delay_alu instid0(VALU_DEP_1) | instskip(SKIP_2) | instid1(VALU_DEP_3)
	v_cmp_lt_u32_e64 s1, v7, v1
	v_add_lshl_u32 v5, v6, v26, 2
	v_cmp_gt_u32_e32 vcc_lo, 24, v26
	v_cndmask_b32_e64 v3, v3, v8, s1
	v_add_nc_u32_e32 v8, 4, v26
	v_cndmask_b32_e64 v7, 0, 1, vcc_lo
	s_or_b32 s5, s0, s1
	ds_bpermute_b32 v6, v5, v3
	v_cmp_lt_u32_e64 s2, v8, v1
	v_lshlrev_b32_e32 v7, 3, v7
	s_delay_alu instid0(VALU_DEP_2)
	s_or_b32 s5, s2, s5
	s_waitcnt lgkmcnt(0)
	v_cmp_lt_f32_e32 vcc_lo, v3, v6
	v_cndmask_b32_e32 v9, v3, v6, vcc_lo
	v_add_lshl_u32 v6, v7, v26, 2
	v_cmp_gt_u32_e32 vcc_lo, 16, v26
	s_delay_alu instid0(VALU_DEP_3)
	v_cndmask_b32_e64 v3, v3, v9, s2
	v_add_nc_u32_e32 v9, 8, v26
	v_cndmask_b32_e64 v8, 0, 1, vcc_lo
	ds_bpermute_b32 v7, v6, v3
	v_cmp_lt_u32_e64 s3, v9, v1
	v_lshlrev_b32_e32 v8, 4, v8
	v_add_nc_u32_e32 v9, 16, v26
	s_delay_alu instid0(VALU_DEP_3) | instskip(NEXT) | instid1(VALU_DEP_1)
	s_or_b32 s5, s3, s5
	v_cmp_lt_u32_e64 s4, v9, v1
	s_waitcnt lgkmcnt(0)
	v_cmp_lt_f32_e32 vcc_lo, v3, v7
	v_cndmask_b32_e32 v10, v3, v7, vcc_lo
	v_add_lshl_u32 v7, v8, v26, 2
	s_delay_alu instid0(VALU_DEP_2)
	v_cndmask_b32_e64 v3, v3, v10, s3
	ds_bpermute_b32 v8, v7, v3
	s_waitcnt lgkmcnt(0)
	v_cmp_lt_f32_e32 vcc_lo, v3, v8
	s_and_b32 vcc_lo, s4, vcc_lo
	v_cndmask_b32_e32 v1, v3, v8, vcc_lo
	s_or_b32 vcc_lo, s4, s5
	v_cmp_eq_u32_e64 s5, 0, v26
	s_delay_alu instid0(VALU_DEP_2) | instskip(NEXT) | instid1(VALU_DEP_2)
	v_cndmask_b32_e32 v1, v29, v1, vcc_lo
	s_and_saveexec_b32 s6, s5
	s_cbranch_execz .LBB91_109
; %bb.108:
	v_lshrrev_b32_e32 v3, 3, v0
	s_delay_alu instid0(VALU_DEP_1)
	v_and_b32_e32 v3, 28, v3
	ds_store_b32 v3, v1
.LBB91_109:
	s_or_b32 exec_lo, exec_lo, s6
	v_cmp_gt_u32_e64 s6, 8, v0
	s_waitcnt lgkmcnt(0)
	s_barrier
	buffer_gl0_inv
	s_and_saveexec_b32 s10, s6
	s_cbranch_execz .LBB91_111
; %bb.110:
	v_lshlrev_b32_e32 v1, 2, v26
	v_and_b32_e32 v3, 7, v26
	s_add_i32 s8, s50, 31
	s_delay_alu instid0(SALU_CYCLE_1)
	s_lshr_b32 s9, s8, 5
	ds_load_b32 v1, v1
	v_cmp_ne_u32_e64 s7, 7, v3
	v_add_nc_u32_e32 v10, 1, v3
	v_cmp_gt_u32_e64 s8, 4, v3
	v_add_nc_u32_e32 v12, 2, v3
	s_delay_alu instid0(VALU_DEP_4) | instskip(SKIP_1) | instid1(VALU_DEP_4)
	v_add_co_ci_u32_e64 v8, s7, 0, v26, s7
	v_cmp_gt_u32_e64 s7, 6, v3
	v_cndmask_b32_e64 v11, 0, 1, s8
	v_add_nc_u32_e32 v3, 4, v3
	s_delay_alu instid0(VALU_DEP_4) | instskip(NEXT) | instid1(VALU_DEP_4)
	v_lshlrev_b32_e32 v8, 2, v8
	v_cndmask_b32_e64 v9, 0, 1, s7
	s_delay_alu instid0(VALU_DEP_4) | instskip(NEXT) | instid1(VALU_DEP_2)
	v_lshlrev_b32_e32 v11, 2, v11
	v_lshlrev_b32_e32 v9, 1, v9
	s_delay_alu instid0(VALU_DEP_2)
	v_add_lshl_u32 v11, v11, v26, 2
	s_waitcnt lgkmcnt(0)
	ds_bpermute_b32 v8, v8, v1
	v_add_lshl_u32 v9, v9, v26, 2
	s_waitcnt lgkmcnt(0)
	v_cmp_lt_f32_e64 s7, v1, v8
	s_delay_alu instid0(VALU_DEP_1) | instskip(SKIP_1) | instid1(VALU_DEP_1)
	v_cndmask_b32_e64 v8, v1, v8, s7
	v_cmp_gt_u32_e64 s7, s9, v10
	v_cndmask_b32_e64 v10, v1, v8, s7
	ds_bpermute_b32 v9, v9, v10
	s_waitcnt lgkmcnt(0)
	v_cmp_lt_f32_e64 s8, v10, v9
	s_delay_alu instid0(VALU_DEP_1) | instskip(SKIP_1) | instid1(VALU_DEP_1)
	v_cndmask_b32_e64 v9, v10, v9, s8
	v_cmp_gt_u32_e64 s8, s9, v12
	v_cndmask_b32_e64 v10, v10, v9, s8
	v_cndmask_b32_e64 v8, v8, v9, s8
	v_cmp_gt_u32_e64 s8, s9, v3
	ds_bpermute_b32 v10, v11, v10
	s_waitcnt lgkmcnt(0)
	v_cmp_lt_f32_e64 s9, v8, v10
	s_delay_alu instid0(VALU_DEP_1) | instskip(NEXT) | instid1(SALU_CYCLE_1)
	s_and_b32 s8, s8, s9
	v_cndmask_b32_e64 v3, v8, v10, s8
	s_delay_alu instid0(VALU_DEP_1)
	v_cndmask_b32_e64 v1, v1, v3, s7
.LBB91_111:
	s_or_b32 exec_lo, exec_lo, s10
	ds_bpermute_b32 v3, v2, v57
	s_waitcnt lgkmcnt(0)
	s_barrier
	buffer_gl0_inv
	v_cmp_lt_f32_e64 s7, v57, v3
	s_delay_alu instid0(VALU_DEP_1) | instskip(NEXT) | instid1(VALU_DEP_1)
	v_cndmask_b32_e64 v3, v57, v3, s7
	v_cndmask_b32_e64 v3, v57, v3, s0
	ds_bpermute_b32 v8, v4, v3
	s_waitcnt lgkmcnt(0)
	v_cmp_lt_f32_e64 s7, v3, v8
	s_delay_alu instid0(VALU_DEP_1) | instskip(NEXT) | instid1(VALU_DEP_1)
	v_cndmask_b32_e64 v8, v3, v8, s7
	v_cndmask_b32_e64 v3, v3, v8, s1
	ds_bpermute_b32 v8, v5, v3
	s_waitcnt lgkmcnt(0)
	;; [unrolled: 6-line block ×4, first 2 shown]
	v_cmp_lt_f32_e64 s7, v3, v8
	s_delay_alu instid0(VALU_DEP_1) | instskip(NEXT) | instid1(SALU_CYCLE_1)
	s_and_b32 s7, s4, s7
	v_cndmask_b32_e64 v3, v3, v8, s7
	s_delay_alu instid0(VALU_DEP_1)
	v_cndmask_b32_e32 v3, v57, v3, vcc_lo
	s_and_saveexec_b32 s7, s5
	s_cbranch_execz .LBB91_113
; %bb.112:
	v_lshrrev_b32_e32 v8, 3, v0
	s_delay_alu instid0(VALU_DEP_1)
	v_and_b32_e32 v8, 28, v8
	ds_store_b32 v8, v3
.LBB91_113:
	s_or_b32 exec_lo, exec_lo, s7
	s_waitcnt lgkmcnt(0)
	s_barrier
	buffer_gl0_inv
	s_and_saveexec_b32 s9, s6
	s_cbranch_execz .LBB91_115
; %bb.114:
	v_lshlrev_b32_e32 v3, 2, v26
	s_add_i32 s7, s50, 31
	s_delay_alu instid0(SALU_CYCLE_1) | instskip(SKIP_2) | instid1(VALU_DEP_1)
	s_lshr_b32 s8, s7, 5
	ds_load_b32 v3, v3
	v_and_b32_e32 v8, 7, v26
	v_cmp_ne_u32_e32 vcc_lo, 7, v8
	v_add_co_ci_u32_e32 v9, vcc_lo, 0, v26, vcc_lo
	v_cmp_gt_u32_e32 vcc_lo, 6, v8
	s_delay_alu instid0(VALU_DEP_2)
	v_lshlrev_b32_e32 v9, 2, v9
	v_cndmask_b32_e64 v10, 0, 1, vcc_lo
	s_waitcnt lgkmcnt(0)
	ds_bpermute_b32 v9, v9, v3
	s_waitcnt lgkmcnt(0)
	v_cmp_lt_f32_e32 vcc_lo, v3, v9
	v_cndmask_b32_e32 v9, v3, v9, vcc_lo
	v_add_nc_u32_e32 v11, 1, v8
	v_cmp_gt_u32_e64 s7, 4, v8
	v_add_nc_u32_e32 v13, 2, v8
	v_add_nc_u32_e32 v8, 4, v8
	s_delay_alu instid0(VALU_DEP_4) | instskip(SKIP_3) | instid1(VALU_DEP_3)
	v_cmp_gt_u32_e32 vcc_lo, s8, v11
	v_lshlrev_b32_e32 v10, 1, v10
	v_cndmask_b32_e64 v12, 0, 1, s7
	v_cndmask_b32_e32 v11, v3, v9, vcc_lo
	v_add_lshl_u32 v10, v10, v26, 2
	s_delay_alu instid0(VALU_DEP_3) | instskip(SKIP_4) | instid1(VALU_DEP_1)
	v_lshlrev_b32_e32 v12, 2, v12
	ds_bpermute_b32 v10, v10, v11
	v_add_lshl_u32 v12, v12, v26, 2
	s_waitcnt lgkmcnt(0)
	v_cmp_lt_f32_e64 s7, v11, v10
	v_cndmask_b32_e64 v10, v11, v10, s7
	v_cmp_gt_u32_e64 s7, s8, v13
	s_delay_alu instid0(VALU_DEP_1)
	v_cndmask_b32_e64 v11, v11, v10, s7
	v_cndmask_b32_e64 v9, v9, v10, s7
	v_cmp_gt_u32_e64 s7, s8, v8
	ds_bpermute_b32 v11, v12, v11
	s_waitcnt lgkmcnt(0)
	v_cmp_lt_f32_e64 s8, v9, v11
	s_delay_alu instid0(VALU_DEP_1) | instskip(NEXT) | instid1(SALU_CYCLE_1)
	s_and_b32 s7, s7, s8
	v_cndmask_b32_e64 v8, v9, v11, s7
	s_delay_alu instid0(VALU_DEP_1)
	v_cndmask_b32_e32 v3, v3, v8, vcc_lo
.LBB91_115:
	s_or_b32 exec_lo, exec_lo, s9
	s_cmp_lg_u64 s[34:35], 0
	s_cselect_b32 s7, -1, 0
	s_delay_alu instid0(SALU_CYCLE_1)
	s_and_b32 vcc_lo, exec_lo, s7
	s_cbranch_vccz .LBB91_121
; %bb.116:
	ds_bpermute_b32 v2, v2, v28
	s_waitcnt lgkmcnt(0)
	s_barrier
	buffer_gl0_inv
	v_add_f32_e32 v2, v28, v2
	s_delay_alu instid0(VALU_DEP_1) | instskip(SKIP_3) | instid1(VALU_DEP_1)
	v_cndmask_b32_e64 v2, v28, v2, s0
	ds_bpermute_b32 v4, v4, v2
	s_waitcnt lgkmcnt(0)
	v_add_f32_e32 v4, v2, v4
	v_cndmask_b32_e64 v2, v2, v4, s1
	ds_bpermute_b32 v4, v5, v2
	s_waitcnt lgkmcnt(0)
	v_add_f32_e32 v4, v2, v4
	s_delay_alu instid0(VALU_DEP_1) | instskip(SKIP_3) | instid1(VALU_DEP_1)
	v_cndmask_b32_e64 v2, v2, v4, s2
	ds_bpermute_b32 v4, v6, v2
	s_waitcnt lgkmcnt(0)
	v_add_f32_e32 v4, v2, v4
	v_cndmask_b32_e64 v2, v2, v4, s3
	ds_bpermute_b32 v4, v7, v2
	s_waitcnt lgkmcnt(0)
	v_add_f32_e32 v4, v2, v4
	s_delay_alu instid0(VALU_DEP_1)
	v_cndmask_b32_e64 v28, v2, v4, s4
	s_and_saveexec_b32 s0, s5
	s_cbranch_execz .LBB91_118
; %bb.117:
	v_lshrrev_b32_e32 v2, 3, v0
	s_delay_alu instid0(VALU_DEP_1)
	v_and_b32_e32 v2, 28, v2
	ds_store_b32 v2, v28
.LBB91_118:
	s_or_b32 exec_lo, exec_lo, s0
	s_waitcnt lgkmcnt(0)
	s_barrier
	buffer_gl0_inv
	s_and_saveexec_b32 s1, s6
	s_cbranch_execz .LBB91_120
; %bb.119:
	v_lshlrev_b32_e32 v2, 2, v26
	s_add_i32 s50, s50, 31
	s_delay_alu instid0(SALU_CYCLE_1) | instskip(SKIP_2) | instid1(VALU_DEP_1)
	s_lshr_b32 s2, s50, 5
	ds_load_b32 v2, v2
	v_and_b32_e32 v4, 7, v26
	v_cmp_ne_u32_e32 vcc_lo, 7, v4
	v_add_co_ci_u32_e32 v5, vcc_lo, 0, v26, vcc_lo
	s_delay_alu instid0(VALU_DEP_1)
	v_lshlrev_b32_e32 v5, 2, v5
	s_waitcnt lgkmcnt(0)
	ds_bpermute_b32 v5, v5, v2
	s_waitcnt lgkmcnt(0)
	v_add_f32_e32 v5, v2, v5
	v_cmp_gt_u32_e32 vcc_lo, 6, v4
	v_add_nc_u32_e32 v7, 1, v4
	v_cmp_gt_u32_e64 s0, 4, v4
	v_add_nc_u32_e32 v8, 2, v4
	v_add_nc_u32_e32 v4, 4, v4
	v_cndmask_b32_e64 v6, 0, 1, vcc_lo
	v_cmp_gt_u32_e32 vcc_lo, s2, v7
	v_cndmask_b32_e64 v7, 0, 1, s0
	v_cmp_gt_u32_e64 s0, s2, v8
	s_delay_alu instid0(VALU_DEP_4) | instskip(NEXT) | instid1(VALU_DEP_1)
	v_dual_cndmask_b32 v5, v2, v5 :: v_dual_lshlrev_b32 v6, 1, v6
	v_add_lshl_u32 v6, v6, v26, 2
	ds_bpermute_b32 v6, v6, v5
	s_waitcnt lgkmcnt(0)
	v_add_f32_e32 v6, v5, v6
	s_delay_alu instid0(VALU_DEP_1) | instskip(SKIP_2) | instid1(VALU_DEP_2)
	v_cndmask_b32_e64 v5, v5, v6, s0
	v_lshlrev_b32_e32 v7, 2, v7
	v_cmp_gt_u32_e64 s0, s2, v4
	v_add_lshl_u32 v6, v7, v26, 2
	ds_bpermute_b32 v6, v6, v5
	s_waitcnt lgkmcnt(0)
	v_add_f32_e32 v6, v5, v6
	s_delay_alu instid0(VALU_DEP_1) | instskip(NEXT) | instid1(VALU_DEP_1)
	v_cndmask_b32_e64 v4, v5, v6, s0
	v_cndmask_b32_e32 v28, v2, v4, vcc_lo
.LBB91_120:
	s_or_b32 exec_lo, exec_lo, s1
.LBB91_121:
	s_mov_b32 s1, 0
	s_mov_b32 s0, exec_lo
	v_cmpx_eq_u32_e32 0, v0
	s_cbranch_execz .LBB91_136
; %bb.122:
	v_mov_b32_e32 v0, 0
	v_cmp_eq_f32_e32 vcc_lo, 0, v1
                                        ; implicit-def: $sgpr2
                                        ; implicit-def: $sgpr3
	global_load_b32 v2, v0, s[40:41] glc
	s_waitcnt vmcnt(0)
	v_cmp_eq_u32_e64 s4, 0x80000000, v2
	s_set_inst_prefetch_distance 0x1
	s_branch .LBB91_124
	.p2align	6
.LBB91_123:                             ;   in Loop: Header=BB91_124 Depth=1
	s_or_b32 exec_lo, exec_lo, s5
	s_delay_alu instid0(SALU_CYCLE_1) | instskip(NEXT) | instid1(SALU_CYCLE_1)
	s_and_b32 s0, exec_lo, s2
	s_or_b32 s1, s0, s1
	s_and_not1_b32 s0, s4, exec_lo
	s_and_b32 s4, s3, exec_lo
	s_delay_alu instid0(SALU_CYCLE_1)
	s_or_b32 s4, s0, s4
	s_and_not1_b32 exec_lo, exec_lo, s1
	s_cbranch_execz .LBB91_126
.LBB91_124:                             ; =>This Inner Loop Header: Depth=1
	v_cmp_lt_f32_e64 s0, v2, v1
	s_delay_alu instid0(VALU_DEP_2) | instskip(SKIP_2) | instid1(VALU_DEP_1)
	s_and_b32 s5, vcc_lo, s4
	s_and_not1_b32 s3, s3, exec_lo
	s_or_b32 s2, s2, exec_lo
	s_or_b32 s0, s0, s5
	s_delay_alu instid0(SALU_CYCLE_1)
	s_and_saveexec_b32 s5, s0
	s_cbranch_execz .LBB91_123
; %bb.125:                              ;   in Loop: Header=BB91_124 Depth=1
	global_atomic_cmpswap_b32 v4, v0, v[1:2], s[40:41] glc
	s_and_not1_b32 s3, s3, exec_lo
	s_and_not1_b32 s2, s2, exec_lo
	s_waitcnt vmcnt(0)
	v_cmp_eq_u32_e64 s0, v4, v2
	s_delay_alu instid0(VALU_DEP_1) | instskip(SKIP_1) | instid1(SALU_CYCLE_1)
	v_cndmask_b32_e64 v2, v4, v2, s0
	s_and_b32 s0, s0, exec_lo
	s_or_b32 s2, s2, s0
	s_delay_alu instid0(VALU_DEP_1) | instskip(SKIP_1) | instid1(VALU_DEP_2)
	v_cmp_class_f32_e64 s4, v2, 32
	v_mov_b32_e32 v2, v4
	s_and_b32 s4, s4, exec_lo
	s_delay_alu instid0(SALU_CYCLE_1)
	s_or_b32 s3, s3, s4
                                        ; implicit-def: $sgpr4
	s_branch .LBB91_123
.LBB91_126:
	s_set_inst_prefetch_distance 0x2
	s_or_b32 exec_lo, exec_lo, s1
	v_mov_b32_e32 v0, 0
	v_cmp_eq_f32_e32 vcc_lo, 0, v3
	s_mov_b32 s1, 0
                                        ; implicit-def: $sgpr2
                                        ; implicit-def: $sgpr3
	global_load_b32 v4, v0, s[42:43] glc
	s_waitcnt vmcnt(0)
	v_cmp_eq_u32_e64 s4, 0x80000000, v4
	s_set_inst_prefetch_distance 0x1
	s_branch .LBB91_128
	.p2align	6
.LBB91_127:                             ;   in Loop: Header=BB91_128 Depth=1
	s_or_b32 exec_lo, exec_lo, s5
	s_delay_alu instid0(SALU_CYCLE_1) | instskip(NEXT) | instid1(SALU_CYCLE_1)
	s_and_b32 s0, exec_lo, s2
	s_or_b32 s1, s0, s1
	s_and_not1_b32 s0, s4, exec_lo
	s_and_b32 s4, s3, exec_lo
	s_delay_alu instid0(SALU_CYCLE_1)
	s_or_b32 s4, s0, s4
	s_and_not1_b32 exec_lo, exec_lo, s1
	s_cbranch_execz .LBB91_130
.LBB91_128:                             ; =>This Inner Loop Header: Depth=1
	v_cmp_lt_f32_e64 s0, v4, v3
	s_delay_alu instid0(VALU_DEP_2) | instskip(SKIP_2) | instid1(VALU_DEP_1)
	s_and_b32 s5, vcc_lo, s4
	s_and_not1_b32 s3, s3, exec_lo
	s_or_b32 s2, s2, exec_lo
	s_or_b32 s0, s0, s5
	s_delay_alu instid0(SALU_CYCLE_1)
	s_and_saveexec_b32 s5, s0
	s_cbranch_execz .LBB91_127
; %bb.129:                              ;   in Loop: Header=BB91_128 Depth=1
	global_atomic_cmpswap_b32 v1, v0, v[3:4], s[42:43] glc
	s_and_not1_b32 s3, s3, exec_lo
	s_and_not1_b32 s2, s2, exec_lo
	s_waitcnt vmcnt(0)
	v_cmp_eq_u32_e64 s0, v1, v4
	s_delay_alu instid0(VALU_DEP_1) | instskip(SKIP_2) | instid1(SALU_CYCLE_1)
	v_cndmask_b32_e64 v2, v1, v4, s0
	v_mov_b32_e32 v4, v1
	s_and_b32 s0, s0, exec_lo
	s_or_b32 s2, s2, s0
	s_delay_alu instid0(VALU_DEP_2) | instskip(NEXT) | instid1(VALU_DEP_1)
	v_cmp_class_f32_e64 s4, v2, 32
	s_and_b32 s4, s4, exec_lo
	s_delay_alu instid0(SALU_CYCLE_1)
	s_or_b32 s3, s3, s4
                                        ; implicit-def: $sgpr4
	s_branch .LBB91_127
.LBB91_130:
	s_set_inst_prefetch_distance 0x2
	s_or_b32 exec_lo, exec_lo, s1
	s_delay_alu instid0(SALU_CYCLE_1)
	s_and_not1_b32 vcc_lo, exec_lo, s7
	s_cbranch_vccnz .LBB91_136
; %bb.131:
	v_bfrev_b32_e32 v2, 1
	s_mov_b32 s0, exec_lo
.LBB91_132:                             ; =>This Inner Loop Header: Depth=1
	s_delay_alu instid0(SALU_CYCLE_1) | instskip(NEXT) | instid1(SALU_CYCLE_1)
	s_ctz_i32_b32 s1, s0
	v_readlane_b32 s2, v28, s1
	s_lshl_b32 s1, 1, s1
	s_delay_alu instid0(SALU_CYCLE_1) | instskip(NEXT) | instid1(SALU_CYCLE_1)
	s_and_not1_b32 s0, s0, s1
	s_cmp_lg_u32 s0, 0
	s_delay_alu instid0(VALU_DEP_1)
	v_add_f32_e32 v2, s2, v2
	s_cbranch_scc1 .LBB91_132
; %bb.133:
	v_mbcnt_lo_u32_b32 v0, exec_lo, 0
	s_mov_b32 s0, 0
	s_mov_b32 s1, exec_lo
	s_delay_alu instid0(VALU_DEP_1)
	v_cmpx_eq_u32_e32 0, v0
	s_xor_b32 s1, exec_lo, s1
	s_cbranch_execz .LBB91_136
; %bb.134:
	v_mov_b32_e32 v3, 0
	global_load_b32 v1, v3, s[34:35]
.LBB91_135:                             ; =>This Inner Loop Header: Depth=1
	s_waitcnt vmcnt(0)
	v_add_f32_e32 v0, v1, v2
	global_atomic_cmpswap_b32 v0, v3, v[0:1], s[34:35] glc
	s_waitcnt vmcnt(0)
	v_cmp_eq_u32_e32 vcc_lo, v0, v1
	v_mov_b32_e32 v1, v0
	s_or_b32 s0, vcc_lo, s0
	s_delay_alu instid0(SALU_CYCLE_1)
	s_and_not1_b32 exec_lo, exec_lo, s0
	s_cbranch_execnz .LBB91_135
.LBB91_136:
	s_endpgm
	.section	.rodata,"a",@progbits
	.p2align	6, 0x0
	.amdhsa_kernel _Z38kPreconditionOptimizerStatic8bit2StateIfLi0EEvPT_S1_PhS2_PffffiS3_S3_S3_S3_S3_S3_fi
		.amdhsa_group_segment_fixed_size 18944
		.amdhsa_private_segment_fixed_size 0
		.amdhsa_kernarg_size 368
		.amdhsa_user_sgpr_count 15
		.amdhsa_user_sgpr_dispatch_ptr 0
		.amdhsa_user_sgpr_queue_ptr 0
		.amdhsa_user_sgpr_kernarg_segment_ptr 1
		.amdhsa_user_sgpr_dispatch_id 0
		.amdhsa_user_sgpr_private_segment_size 0
		.amdhsa_wavefront_size32 1
		.amdhsa_uses_dynamic_stack 0
		.amdhsa_enable_private_segment 0
		.amdhsa_system_sgpr_workgroup_id_x 1
		.amdhsa_system_sgpr_workgroup_id_y 0
		.amdhsa_system_sgpr_workgroup_id_z 0
		.amdhsa_system_sgpr_workgroup_info 0
		.amdhsa_system_vgpr_workitem_id 0
		.amdhsa_next_free_vgpr 114
		.amdhsa_next_free_sgpr 51
		.amdhsa_reserve_vcc 1
		.amdhsa_float_round_mode_32 0
		.amdhsa_float_round_mode_16_64 0
		.amdhsa_float_denorm_mode_32 3
		.amdhsa_float_denorm_mode_16_64 3
		.amdhsa_dx10_clamp 1
		.amdhsa_ieee_mode 1
		.amdhsa_fp16_overflow 0
		.amdhsa_workgroup_processor_mode 1
		.amdhsa_memory_ordered 1
		.amdhsa_forward_progress 0
		.amdhsa_shared_vgpr_count 0
		.amdhsa_exception_fp_ieee_invalid_op 0
		.amdhsa_exception_fp_denorm_src 0
		.amdhsa_exception_fp_ieee_div_zero 0
		.amdhsa_exception_fp_ieee_overflow 0
		.amdhsa_exception_fp_ieee_underflow 0
		.amdhsa_exception_fp_ieee_inexact 0
		.amdhsa_exception_int_div_zero 0
	.end_amdhsa_kernel
	.section	.text._Z38kPreconditionOptimizerStatic8bit2StateIfLi0EEvPT_S1_PhS2_PffffiS3_S3_S3_S3_S3_S3_fi,"axG",@progbits,_Z38kPreconditionOptimizerStatic8bit2StateIfLi0EEvPT_S1_PhS2_PffffiS3_S3_S3_S3_S3_S3_fi,comdat
.Lfunc_end91:
	.size	_Z38kPreconditionOptimizerStatic8bit2StateIfLi0EEvPT_S1_PhS2_PffffiS3_S3_S3_S3_S3_S3_fi, .Lfunc_end91-_Z38kPreconditionOptimizerStatic8bit2StateIfLi0EEvPT_S1_PhS2_PffffiS3_S3_S3_S3_S3_S3_fi
                                        ; -- End function
	.section	.AMDGPU.csdata,"",@progbits
; Kernel info:
; codeLenInByte = 14220
; NumSgprs: 53
; NumVgprs: 114
; ScratchSize: 0
; MemoryBound: 0
; FloatMode: 240
; IeeeMode: 1
; LDSByteSize: 18944 bytes/workgroup (compile time only)
; SGPRBlocks: 6
; VGPRBlocks: 14
; NumSGPRsForWavesPerEU: 53
; NumVGPRsForWavesPerEU: 114
; Occupancy: 12
; WaveLimiterHint : 0
; COMPUTE_PGM_RSRC2:SCRATCH_EN: 0
; COMPUTE_PGM_RSRC2:USER_SGPR: 15
; COMPUTE_PGM_RSRC2:TRAP_HANDLER: 0
; COMPUTE_PGM_RSRC2:TGID_X_EN: 1
; COMPUTE_PGM_RSRC2:TGID_Y_EN: 0
; COMPUTE_PGM_RSRC2:TGID_Z_EN: 0
; COMPUTE_PGM_RSRC2:TIDIG_COMP_CNT: 0
	.section	.text._Z26kOptimizerStatic8bit2StateI6__halfLi0EEvPT_S2_PhS3_PKffffffifPfS6_S6_S6_S6_S6_ffi,"axG",@progbits,_Z26kOptimizerStatic8bit2StateI6__halfLi0EEvPT_S2_PhS3_PKffffffifPfS6_S6_S6_S6_S6_ffi,comdat
